;; amdgpu-corpus repo=ROCm/rocFFT kind=compiled arch=gfx906 opt=O3
	.text
	.amdgcn_target "amdgcn-amd-amdhsa--gfx906"
	.amdhsa_code_object_version 6
	.protected	fft_rtc_back_len1575_factors_3_3_5_7_5_wgs_63_tpt_63_halfLds_sp_ip_CI_unitstride_sbrr_dirReg ; -- Begin function fft_rtc_back_len1575_factors_3_3_5_7_5_wgs_63_tpt_63_halfLds_sp_ip_CI_unitstride_sbrr_dirReg
	.globl	fft_rtc_back_len1575_factors_3_3_5_7_5_wgs_63_tpt_63_halfLds_sp_ip_CI_unitstride_sbrr_dirReg
	.p2align	8
	.type	fft_rtc_back_len1575_factors_3_3_5_7_5_wgs_63_tpt_63_halfLds_sp_ip_CI_unitstride_sbrr_dirReg,@function
fft_rtc_back_len1575_factors_3_3_5_7_5_wgs_63_tpt_63_halfLds_sp_ip_CI_unitstride_sbrr_dirReg: ; @fft_rtc_back_len1575_factors_3_3_5_7_5_wgs_63_tpt_63_halfLds_sp_ip_CI_unitstride_sbrr_dirReg
; %bb.0:
	s_load_dwordx2 s[12:13], s[4:5], 0x50
	s_load_dwordx4 s[8:11], s[4:5], 0x0
	s_load_dwordx2 s[2:3], s[4:5], 0x18
	v_mul_u32_u24_e32 v1, 0x411, v0
	v_add_u32_sdwa v5, s6, v1 dst_sel:DWORD dst_unused:UNUSED_PAD src0_sel:DWORD src1_sel:WORD_1
	v_mov_b32_e32 v3, 0
	s_waitcnt lgkmcnt(0)
	v_cmp_lt_u64_e64 s[0:1], s[10:11], 2
	v_mov_b32_e32 v1, 0
	v_mov_b32_e32 v6, v3
	s_and_b64 vcc, exec, s[0:1]
	v_mov_b32_e32 v2, 0
	s_cbranch_vccnz .LBB0_8
; %bb.1:
	s_load_dwordx2 s[0:1], s[4:5], 0x10
	s_add_u32 s6, s2, 8
	s_addc_u32 s7, s3, 0
	v_mov_b32_e32 v1, 0
	v_mov_b32_e32 v2, 0
	s_waitcnt lgkmcnt(0)
	s_add_u32 s14, s0, 8
	s_addc_u32 s15, s1, 0
	s_mov_b64 s[16:17], 1
.LBB0_2:                                ; =>This Inner Loop Header: Depth=1
	s_load_dwordx2 s[18:19], s[14:15], 0x0
                                        ; implicit-def: $vgpr7_vgpr8
	s_waitcnt lgkmcnt(0)
	v_or_b32_e32 v4, s19, v6
	v_cmp_ne_u64_e32 vcc, 0, v[3:4]
	s_and_saveexec_b64 s[0:1], vcc
	s_xor_b64 s[20:21], exec, s[0:1]
	s_cbranch_execz .LBB0_4
; %bb.3:                                ;   in Loop: Header=BB0_2 Depth=1
	v_cvt_f32_u32_e32 v4, s18
	v_cvt_f32_u32_e32 v7, s19
	s_sub_u32 s0, 0, s18
	s_subb_u32 s1, 0, s19
	v_mac_f32_e32 v4, 0x4f800000, v7
	v_rcp_f32_e32 v4, v4
	v_mul_f32_e32 v4, 0x5f7ffffc, v4
	v_mul_f32_e32 v7, 0x2f800000, v4
	v_trunc_f32_e32 v7, v7
	v_mac_f32_e32 v4, 0xcf800000, v7
	v_cvt_u32_f32_e32 v7, v7
	v_cvt_u32_f32_e32 v4, v4
	v_mul_lo_u32 v8, s0, v7
	v_mul_hi_u32 v9, s0, v4
	v_mul_lo_u32 v11, s1, v4
	v_mul_lo_u32 v10, s0, v4
	v_add_u32_e32 v8, v9, v8
	v_add_u32_e32 v8, v8, v11
	v_mul_hi_u32 v9, v4, v10
	v_mul_lo_u32 v11, v4, v8
	v_mul_hi_u32 v13, v4, v8
	v_mul_hi_u32 v12, v7, v10
	v_mul_lo_u32 v10, v7, v10
	v_mul_hi_u32 v14, v7, v8
	v_add_co_u32_e32 v9, vcc, v9, v11
	v_addc_co_u32_e32 v11, vcc, 0, v13, vcc
	v_mul_lo_u32 v8, v7, v8
	v_add_co_u32_e32 v9, vcc, v9, v10
	v_addc_co_u32_e32 v9, vcc, v11, v12, vcc
	v_addc_co_u32_e32 v10, vcc, 0, v14, vcc
	v_add_co_u32_e32 v8, vcc, v9, v8
	v_addc_co_u32_e32 v9, vcc, 0, v10, vcc
	v_add_co_u32_e32 v4, vcc, v4, v8
	v_addc_co_u32_e32 v7, vcc, v7, v9, vcc
	v_mul_lo_u32 v8, s0, v7
	v_mul_hi_u32 v9, s0, v4
	v_mul_lo_u32 v10, s1, v4
	v_mul_lo_u32 v11, s0, v4
	v_add_u32_e32 v8, v9, v8
	v_add_u32_e32 v8, v8, v10
	v_mul_lo_u32 v12, v4, v8
	v_mul_hi_u32 v13, v4, v11
	v_mul_hi_u32 v14, v4, v8
	;; [unrolled: 1-line block ×3, first 2 shown]
	v_mul_lo_u32 v11, v7, v11
	v_mul_hi_u32 v9, v7, v8
	v_add_co_u32_e32 v12, vcc, v13, v12
	v_addc_co_u32_e32 v13, vcc, 0, v14, vcc
	v_mul_lo_u32 v8, v7, v8
	v_add_co_u32_e32 v11, vcc, v12, v11
	v_addc_co_u32_e32 v10, vcc, v13, v10, vcc
	v_addc_co_u32_e32 v9, vcc, 0, v9, vcc
	v_add_co_u32_e32 v8, vcc, v10, v8
	v_addc_co_u32_e32 v9, vcc, 0, v9, vcc
	v_add_co_u32_e32 v4, vcc, v4, v8
	v_addc_co_u32_e32 v9, vcc, v7, v9, vcc
	v_mad_u64_u32 v[7:8], s[0:1], v5, v9, 0
	v_mul_hi_u32 v10, v5, v4
	v_add_co_u32_e32 v11, vcc, v10, v7
	v_addc_co_u32_e32 v12, vcc, 0, v8, vcc
	v_mad_u64_u32 v[7:8], s[0:1], v6, v4, 0
	v_mad_u64_u32 v[9:10], s[0:1], v6, v9, 0
	v_add_co_u32_e32 v4, vcc, v11, v7
	v_addc_co_u32_e32 v4, vcc, v12, v8, vcc
	v_addc_co_u32_e32 v7, vcc, 0, v10, vcc
	v_add_co_u32_e32 v4, vcc, v4, v9
	v_addc_co_u32_e32 v9, vcc, 0, v7, vcc
	v_mul_lo_u32 v10, s19, v4
	v_mul_lo_u32 v11, s18, v9
	v_mad_u64_u32 v[7:8], s[0:1], s18, v4, 0
	v_add3_u32 v8, v8, v11, v10
	v_sub_u32_e32 v10, v6, v8
	v_mov_b32_e32 v11, s19
	v_sub_co_u32_e32 v7, vcc, v5, v7
	v_subb_co_u32_e64 v10, s[0:1], v10, v11, vcc
	v_subrev_co_u32_e64 v11, s[0:1], s18, v7
	v_subbrev_co_u32_e64 v10, s[0:1], 0, v10, s[0:1]
	v_cmp_le_u32_e64 s[0:1], s19, v10
	v_cndmask_b32_e64 v12, 0, -1, s[0:1]
	v_cmp_le_u32_e64 s[0:1], s18, v11
	v_cndmask_b32_e64 v11, 0, -1, s[0:1]
	v_cmp_eq_u32_e64 s[0:1], s19, v10
	v_cndmask_b32_e64 v10, v12, v11, s[0:1]
	v_add_co_u32_e64 v11, s[0:1], 2, v4
	v_addc_co_u32_e64 v12, s[0:1], 0, v9, s[0:1]
	v_add_co_u32_e64 v13, s[0:1], 1, v4
	v_addc_co_u32_e64 v14, s[0:1], 0, v9, s[0:1]
	v_subb_co_u32_e32 v8, vcc, v6, v8, vcc
	v_cmp_ne_u32_e64 s[0:1], 0, v10
	v_cmp_le_u32_e32 vcc, s19, v8
	v_cndmask_b32_e64 v10, v14, v12, s[0:1]
	v_cndmask_b32_e64 v12, 0, -1, vcc
	v_cmp_le_u32_e32 vcc, s18, v7
	v_cndmask_b32_e64 v7, 0, -1, vcc
	v_cmp_eq_u32_e32 vcc, s19, v8
	v_cndmask_b32_e32 v7, v12, v7, vcc
	v_cmp_ne_u32_e32 vcc, 0, v7
	v_cndmask_b32_e64 v7, v13, v11, s[0:1]
	v_cndmask_b32_e32 v8, v9, v10, vcc
	v_cndmask_b32_e32 v7, v4, v7, vcc
.LBB0_4:                                ;   in Loop: Header=BB0_2 Depth=1
	s_andn2_saveexec_b64 s[0:1], s[20:21]
	s_cbranch_execz .LBB0_6
; %bb.5:                                ;   in Loop: Header=BB0_2 Depth=1
	v_cvt_f32_u32_e32 v4, s18
	s_sub_i32 s20, 0, s18
	v_rcp_iflag_f32_e32 v4, v4
	v_mul_f32_e32 v4, 0x4f7ffffe, v4
	v_cvt_u32_f32_e32 v4, v4
	v_mul_lo_u32 v7, s20, v4
	v_mul_hi_u32 v7, v4, v7
	v_add_u32_e32 v4, v4, v7
	v_mul_hi_u32 v4, v5, v4
	v_mul_lo_u32 v7, v4, s18
	v_add_u32_e32 v8, 1, v4
	v_sub_u32_e32 v7, v5, v7
	v_subrev_u32_e32 v9, s18, v7
	v_cmp_le_u32_e32 vcc, s18, v7
	v_cndmask_b32_e32 v7, v7, v9, vcc
	v_cndmask_b32_e32 v4, v4, v8, vcc
	v_add_u32_e32 v8, 1, v4
	v_cmp_le_u32_e32 vcc, s18, v7
	v_cndmask_b32_e32 v7, v4, v8, vcc
	v_mov_b32_e32 v8, v3
.LBB0_6:                                ;   in Loop: Header=BB0_2 Depth=1
	s_or_b64 exec, exec, s[0:1]
	v_mul_lo_u32 v4, v8, s18
	v_mul_lo_u32 v11, v7, s19
	v_mad_u64_u32 v[9:10], s[0:1], v7, s18, 0
	s_load_dwordx2 s[0:1], s[6:7], 0x0
	s_add_u32 s16, s16, 1
	v_add3_u32 v4, v10, v11, v4
	v_sub_co_u32_e32 v5, vcc, v5, v9
	v_subb_co_u32_e32 v4, vcc, v6, v4, vcc
	s_waitcnt lgkmcnt(0)
	v_mul_lo_u32 v4, s0, v4
	v_mul_lo_u32 v6, s1, v5
	v_mad_u64_u32 v[1:2], s[0:1], s0, v5, v[1:2]
	s_addc_u32 s17, s17, 0
	s_add_u32 s6, s6, 8
	v_add3_u32 v2, v6, v2, v4
	v_mov_b32_e32 v4, s10
	v_mov_b32_e32 v5, s11
	s_addc_u32 s7, s7, 0
	v_cmp_ge_u64_e32 vcc, s[16:17], v[4:5]
	s_add_u32 s14, s14, 8
	s_addc_u32 s15, s15, 0
	s_cbranch_vccnz .LBB0_9
; %bb.7:                                ;   in Loop: Header=BB0_2 Depth=1
	v_mov_b32_e32 v5, v7
	v_mov_b32_e32 v6, v8
	s_branch .LBB0_2
.LBB0_8:
	v_mov_b32_e32 v8, v6
	v_mov_b32_e32 v7, v5
.LBB0_9:
	s_lshl_b64 s[0:1], s[10:11], 3
	s_add_u32 s0, s2, s0
	s_addc_u32 s1, s3, s1
	s_load_dwordx2 s[2:3], s[0:1], 0x0
	s_load_dwordx2 s[6:7], s[4:5], 0x20
                                        ; implicit-def: $vgpr12
                                        ; implicit-def: $vgpr44
                                        ; implicit-def: $vgpr74
                                        ; implicit-def: $vgpr42
                                        ; implicit-def: $vgpr36
                                        ; implicit-def: $vgpr60
                                        ; implicit-def: $vgpr14
                                        ; implicit-def: $vgpr52
                                        ; implicit-def: $vgpr46
                                        ; implicit-def: $vgpr18
                                        ; implicit-def: $vgpr28
                                        ; implicit-def: $vgpr16
                                        ; implicit-def: $vgpr22
                                        ; implicit-def: $vgpr24
                                        ; implicit-def: $vgpr32
                                        ; implicit-def: $vgpr56
                                        ; implicit-def: $vgpr64
                                        ; implicit-def: $vgpr50
                                        ; implicit-def: $vgpr40
                                        ; implicit-def: $vgpr66
                                        ; implicit-def: $vgpr62
                                        ; implicit-def: $vgpr26
                                        ; implicit-def: $vgpr72
                                        ; implicit-def: $vgpr30
                                        ; implicit-def: $vgpr80
                                        ; implicit-def: $vgpr38
	s_waitcnt lgkmcnt(0)
	v_mad_u64_u32 v[1:2], s[0:1], s2, v7, v[1:2]
	v_mul_lo_u32 v3, s2, v8
	v_mul_lo_u32 v4, s3, v7
	s_mov_b32 s0, 0x4104105
	v_mul_hi_u32 v5, v0, s0
	v_cmp_gt_u64_e64 s[0:1], s[6:7], v[7:8]
	v_add3_u32 v2, v4, v2, v3
	v_lshlrev_b64 v[2:3], 3, v[1:2]
	v_mul_u32_u24_e32 v4, 63, v5
	v_sub_u32_e32 v0, v0, v4
                                        ; implicit-def: $vgpr5
	s_and_saveexec_b64 s[2:3], s[0:1]
	s_cbranch_execz .LBB0_13
; %bb.10:
	v_mov_b32_e32 v1, 0
	v_mov_b32_e32 v4, s13
	v_add_co_u32_e32 v6, vcc, s12, v2
	v_addc_co_u32_e32 v7, vcc, v4, v3, vcc
	v_lshlrev_b64 v[4:5], 3, v[0:1]
                                        ; implicit-def: $vgpr63
                                        ; implicit-def: $vgpr55
	v_add_co_u32_e32 v6, vcc, v6, v4
	v_addc_co_u32_e32 v7, vcc, v7, v5, vcc
	v_add_co_u32_e32 v4, vcc, 0x1000, v6
	v_addc_co_u32_e32 v5, vcc, 0, v7, vcc
	;; [unrolled: 2-line block ×3, first 2 shown]
	global_load_dwordx2 v[43:44], v[4:5], off offset:104
	global_load_dwordx2 v[41:42], v[4:5], off offset:608
	;; [unrolled: 1-line block ×15, first 2 shown]
                                        ; kill: killed $vgpr4 killed $vgpr5
	global_load_dwordx2 v[31:32], v[8:9], off offset:3736
	global_load_dwordx2 v[11:12], v[6:7], off
	global_load_dwordx2 v[37:38], v[6:7], off offset:504
	global_load_dwordx2 v[29:30], v[6:7], off offset:1008
	;; [unrolled: 1-line block ×7, first 2 shown]
	v_cmp_gt_u32_e32 vcc, 21, v0
                                        ; implicit-def: $vgpr4
	s_and_saveexec_b64 s[4:5], vcc
	s_cbranch_execz .LBB0_12
; %bb.11:
	v_add_co_u32_e32 v8, vcc, 0x2000, v6
	v_addc_co_u32_e32 v9, vcc, 0, v7, vcc
	v_add_co_u32_e32 v19, vcc, 0x3000, v6
	v_addc_co_u32_e32 v20, vcc, 0, v7, vcc
	global_load_dwordx2 v[4:5], v[6:7], off offset:4032
	global_load_dwordx2 v[55:56], v[8:9], off offset:40
	;; [unrolled: 1-line block ×3, first 2 shown]
.LBB0_12:
	s_or_b64 exec, exec, s[4:5]
.LBB0_13:
	s_or_b64 exec, exec, s[2:3]
	s_waitcnt vmcnt(13)
	v_add_f32_e32 v6, v35, v59
	s_waitcnt vmcnt(5)
	v_add_f32_e32 v1, v29, v35
	v_fmac_f32_e32 v29, -0.5, v6
	v_sub_f32_e32 v6, v36, v60
	v_mov_b32_e32 v7, v29
	v_mad_u32_u24 v19, v0, 12, 0
	v_add_f32_e32 v1, v1, v59
	v_fmac_f32_e32 v7, 0xbf5db3d7, v6
	v_add_u32_e32 v8, 0x5e8, v19
	ds_write2_b32 v8, v1, v7 offset1:1
	v_add_f32_e32 v7, v61, v45
	s_waitcnt vmcnt(3)
	v_add_f32_e32 v1, v61, v25
	v_fmac_f32_e32 v25, -0.5, v7
	v_sub_f32_e32 v7, v62, v46
	v_mov_b32_e32 v8, v25
	v_add_f32_e32 v1, v1, v45
	v_fmac_f32_e32 v8, 0xbf5db3d7, v7
	v_add_u32_e32 v9, 0xbd0, v19
	ds_write2_b32 v9, v1, v8 offset1:1
	v_add_f32_e32 v8, v43, v73
	v_add_f32_e32 v1, v11, v43
	v_fmac_f32_e32 v11, -0.5, v8
	v_sub_f32_e32 v8, v44, v74
	v_mov_b32_e32 v9, v11
	v_add_f32_e32 v1, v1, v73
	v_fmac_f32_e32 v9, 0xbf5db3d7, v8
	v_fmac_f32_e32 v11, 0x3f5db3d7, v8
	v_add_f32_e32 v8, v79, v41
	ds_write2_b32 v19, v1, v9 offset1:1
	v_add_f32_e32 v1, v37, v41
	v_fmac_f32_e32 v37, -0.5, v8
	v_sub_f32_e32 v8, v42, v80
	v_mov_b32_e32 v9, v37
	v_fmac_f32_e32 v9, 0xbf5db3d7, v8
	v_fmac_f32_e32 v29, 0x3f5db3d7, v6
	v_add_f32_e32 v1, v79, v1
	v_add_f32_e32 v6, v71, v51
	ds_write2_b32 v19, v1, v9 offset0:189 offset1:190
	v_add_f32_e32 v1, v71, v13
	v_fmac_f32_e32 v13, -0.5, v6
	v_fmac_f32_e32 v37, 0x3f5db3d7, v8
	v_sub_f32_e32 v6, v72, v52
	v_mov_b32_e32 v8, v13
	v_fmac_f32_e32 v8, 0xbf5db3d7, v6
	v_add_f32_e32 v1, v1, v51
	v_add_u32_e32 v83, 0x8dc, v19
	v_fmac_f32_e32 v13, 0x3f5db3d7, v6
	ds_write2_b32 v83, v1, v8 offset1:1
	s_waitcnt vmcnt(2)
	v_add_f32_e32 v1, v17, v27
	v_add_f32_e32 v6, v65, v27
	v_fmac_f32_e32 v25, 0x3f5db3d7, v7
	v_add_f32_e32 v1, v1, v65
	v_fmac_f32_e32 v17, -0.5, v6
	v_add_u32_e32 v6, 0xb00, v19
	ds_write2_b32 v6, v25, v1 offset0:54 offset1:241
	v_sub_f32_e32 v1, v28, v66
	v_mov_b32_e32 v6, v17
	v_fmac_f32_e32 v6, 0xbf5db3d7, v1
	v_fmac_f32_e32 v17, 0x3f5db3d7, v1
	v_add_u32_e32 v1, 0x500, v19
	ds_write2_b32 v1, v29, v13 offset0:60 offset1:249
	v_add_u32_e32 v1, 0xec8, v19
	ds_write2_b32 v19, v11, v37 offset0:2 offset1:191
	ds_write2_b32 v1, v6, v17 offset1:1
	v_add_f32_e32 v6, v49, v39
	s_waitcnt vmcnt(1)
	v_add_f32_e32 v1, v39, v15
	v_fmac_f32_e32 v15, -0.5, v6
	v_sub_f32_e32 v6, v40, v50
	v_mov_b32_e32 v7, v15
	v_add_f32_e32 v1, v49, v1
	v_fmac_f32_e32 v7, 0xbf5db3d7, v6
	v_fmac_f32_e32 v15, 0x3f5db3d7, v6
	ds_write_b32 v19, v1 offset:4536
	v_add_u32_e32 v1, 0x11bc, v19
	v_add_f32_e32 v6, v23, v31
	ds_write2_b32 v1, v7, v15 offset1:1
	s_waitcnt vmcnt(0)
	v_add_f32_e32 v1, v21, v23
	v_fmac_f32_e32 v21, -0.5, v6
	v_sub_f32_e32 v6, v24, v32
	v_mov_b32_e32 v7, v21
	v_add_f32_e32 v1, v1, v31
	v_fmac_f32_e32 v7, 0xbf5db3d7, v6
	v_fmac_f32_e32 v21, 0x3f5db3d7, v6
	ds_write_b32 v19, v1 offset:5292
	v_add_u32_e32 v1, 0x14b0, v19
	v_add_f32_e32 v6, v55, v63
	ds_write2_b32 v1, v7, v21 offset1:1
	v_add_f32_e32 v1, v55, v4
	v_fmac_f32_e32 v4, -0.5, v6
	v_sub_f32_e32 v6, v56, v64
	v_mov_b32_e32 v82, v4
	v_fmac_f32_e32 v82, 0xbf5db3d7, v6
	v_fmac_f32_e32 v4, 0x3f5db3d7, v6
	v_add_f32_e32 v81, v63, v1
	v_cmp_gt_u32_e32 vcc, 21, v0
	s_and_saveexec_b64 s[2:3], vcc
	s_cbranch_execz .LBB0_15
; %bb.14:
	v_add_u32_e32 v1, 0xec4, v83
	ds_write2_b32 v1, v81, v82 offset1:1
	ds_write_b32 v83, v4 offset:3788
.LBB0_15:
	s_or_b64 exec, exec, s[2:3]
	v_lshl_add_u32 v1, v0, 2, 0
	v_add_u32_e32 v6, 0x800, v1
	v_add_u32_e32 v7, 0x1000, v1
	s_waitcnt lgkmcnt(0)
	; wave barrier
	s_waitcnt lgkmcnt(0)
	ds_read2_b32 v[20:21], v1 offset1:63
	ds_read2_b32 v[75:76], v6 offset0:13 offset1:76
	ds_read2_b32 v[77:78], v7 offset0:26 offset1:89
	;; [unrolled: 1-line block ×5, first 2 shown]
	v_add_u32_e32 v6, 0x200, v1
	ds_read2_b32 v[8:9], v6 offset0:124 offset1:187
	v_add_u32_e32 v13, 0xc00, v1
	v_add_u32_e32 v15, 0x1400, v1
	;; [unrolled: 1-line block ×3, first 2 shown]
	ds_read2_b32 v[57:58], v13 offset0:9 offset1:72
	ds_read2_b32 v[53:54], v15 offset0:22 offset1:85
	;; [unrolled: 1-line block ×5, first 2 shown]
	s_and_saveexec_b64 s[2:3], vcc
	s_cbranch_execz .LBB0_17
; %bb.16:
	ds_read_b32 v81, v1 offset:2016
	ds_read_b32 v82, v1 offset:4116
	;; [unrolled: 1-line block ×3, first 2 shown]
.LBB0_17:
	s_or_b64 exec, exec, s[2:3]
	v_add_f32_e32 v15, v44, v74
	v_add_f32_e32 v13, v12, v44
	v_fmac_f32_e32 v12, -0.5, v15
	v_sub_f32_e32 v15, v43, v73
	v_mov_b32_e32 v17, v12
	v_add_f32_e32 v25, v80, v42
	v_fmac_f32_e32 v17, 0x3f5db3d7, v15
	v_fmac_f32_e32 v12, 0xbf5db3d7, v15
	v_add_f32_e32 v15, v38, v42
	v_fmac_f32_e32 v38, -0.5, v25
	v_sub_f32_e32 v25, v41, v79
	v_mov_b32_e32 v29, v38
	v_fmac_f32_e32 v29, 0x3f5db3d7, v25
	v_fmac_f32_e32 v38, 0xbf5db3d7, v25
	v_add_f32_e32 v25, v30, v36
	v_add_f32_e32 v36, v36, v60
	v_fmac_f32_e32 v30, -0.5, v36
	v_sub_f32_e32 v35, v35, v59
	v_mov_b32_e32 v36, v30
	v_add_f32_e32 v37, v72, v52
	v_fmac_f32_e32 v36, 0x3f5db3d7, v35
	v_fmac_f32_e32 v30, 0xbf5db3d7, v35
	v_add_f32_e32 v35, v72, v14
	v_fmac_f32_e32 v14, -0.5, v37
	v_sub_f32_e32 v37, v71, v51
	v_mov_b32_e32 v41, v14
	v_add_f32_e32 v42, v62, v46
	v_fmac_f32_e32 v41, 0x3f5db3d7, v37
	v_fmac_f32_e32 v14, 0xbf5db3d7, v37
	v_add_f32_e32 v37, v62, v26
	v_fmac_f32_e32 v26, -0.5, v42
	v_sub_f32_e32 v42, v61, v45
	v_mov_b32_e32 v43, v26
	v_fmac_f32_e32 v43, 0x3f5db3d7, v42
	v_fmac_f32_e32 v26, 0xbf5db3d7, v42
	v_add_f32_e32 v42, v18, v28
	v_add_f32_e32 v28, v66, v28
	v_fmac_f32_e32 v18, -0.5, v28
	v_sub_f32_e32 v27, v27, v65
	v_mov_b32_e32 v28, v18
	v_fmac_f32_e32 v28, 0x3f5db3d7, v27
	v_fmac_f32_e32 v18, 0xbf5db3d7, v27
	v_add_f32_e32 v27, v40, v16
	v_add_f32_e32 v40, v50, v40
	;; [unrolled: 1-line block ×3, first 2 shown]
	v_fmac_f32_e32 v16, -0.5, v40
	v_add_f32_e32 v15, v80, v15
	v_add_f32_e32 v25, v25, v60
	v_sub_f32_e32 v39, v39, v49
	v_mov_b32_e32 v40, v16
	s_waitcnt lgkmcnt(0)
	; wave barrier
	s_waitcnt lgkmcnt(0)
	ds_write2_b32 v19, v13, v17 offset1:1
	ds_write2_b32 v19, v15, v29 offset0:189 offset1:190
	ds_write2_b32 v19, v12, v38 offset0:2 offset1:191
	v_add_u32_e32 v12, 0x5e8, v19
	v_add_f32_e32 v35, v35, v52
	v_fmac_f32_e32 v40, 0x3f5db3d7, v39
	v_fmac_f32_e32 v16, 0xbf5db3d7, v39
	v_add_f32_e32 v39, v22, v24
	v_add_f32_e32 v24, v24, v32
	ds_write2_b32 v12, v25, v36 offset1:1
	v_add_u32_e32 v12, 0x8dc, v19
	v_fmac_f32_e32 v22, -0.5, v24
	ds_write2_b32 v12, v35, v41 offset1:1
	v_add_u32_e32 v12, 0x500, v19
	v_add_f32_e32 v37, v37, v46
	v_sub_f32_e32 v23, v23, v31
	v_mov_b32_e32 v24, v22
	ds_write2_b32 v12, v30, v14 offset0:60 offset1:249
	v_add_u32_e32 v12, 0xbd0, v19
	v_add_f32_e32 v42, v42, v66
	v_fmac_f32_e32 v24, 0x3f5db3d7, v23
	v_fmac_f32_e32 v22, 0xbf5db3d7, v23
	v_add_f32_e32 v23, v56, v5
	ds_write2_b32 v12, v37, v43 offset1:1
	v_add_u32_e32 v12, 0xec4, v19
	v_add_f32_e32 v46, v64, v23
	v_add_f32_e32 v23, v56, v64
	ds_write2_b32 v12, v42, v28 offset1:1
	v_add_u32_e32 v12, 0xb00, v19
	v_add_f32_e32 v27, v50, v27
	v_fmac_f32_e32 v5, -0.5, v23
	ds_write2_b32 v12, v26, v18 offset0:54 offset1:243
	v_add_u32_e32 v12, 0x11b8, v19
	v_add_f32_e32 v39, v39, v32
	v_sub_f32_e32 v23, v55, v63
	v_mov_b32_e32 v49, v5
	ds_write2_b32 v12, v27, v40 offset1:1
	v_add_u32_e32 v12, 0x14ac, v19
	v_fmac_f32_e32 v49, 0x3f5db3d7, v23
	v_fmac_f32_e32 v5, 0xbf5db3d7, v23
	ds_write2_b32 v12, v39, v24 offset1:1
	v_add_u32_e32 v12, 0x1100, v19
	ds_write2_b32 v12, v16, v22 offset0:48 offset1:237
	s_and_saveexec_b64 s[2:3], vcc
	s_cbranch_execz .LBB0_19
; %bb.18:
	v_add_u32_e32 v12, 0xec4, v83
	ds_write2_b32 v12, v46, v49 offset1:1
	ds_write_b32 v83, v5 offset:3788
.LBB0_19:
	s_or_b64 exec, exec, s[2:3]
	v_add_u32_e32 v16, 0x800, v1
	v_add_u32_e32 v17, 0x1000, v1
	s_waitcnt lgkmcnt(0)
	; wave barrier
	s_waitcnt lgkmcnt(0)
	ds_read2_b32 v[12:13], v1 offset1:63
	ds_read2_b32 v[37:38], v16 offset0:13 offset1:76
	ds_read2_b32 v[39:40], v17 offset0:26 offset1:89
	;; [unrolled: 1-line block ×5, first 2 shown]
	v_add_u32_e32 v16, 0x200, v1
	v_add_u32_e32 v22, 0xc00, v1
	;; [unrolled: 1-line block ×4, first 2 shown]
	ds_read2_b32 v[16:17], v16 offset0:124 offset1:187
	ds_read2_b32 v[28:29], v22 offset0:9 offset1:72
	;; [unrolled: 1-line block ×6, first 2 shown]
	s_and_saveexec_b64 s[2:3], vcc
	s_cbranch_execz .LBB0_21
; %bb.20:
	ds_read_b32 v46, v1 offset:2016
	ds_read_b32 v49, v1 offset:4116
	;; [unrolled: 1-line block ×3, first 2 shown]
.LBB0_21:
	s_or_b64 exec, exec, s[2:3]
	s_movk_i32 s3, 0xab
	v_mul_lo_u16_sdwa v32, v0, s3 dst_sel:DWORD dst_unused:UNUSED_PAD src0_sel:BYTE_0 src1_sel:DWORD
	v_add_u32_e32 v59, 63, v0
	v_lshrrev_b16_e32 v79, 9, v32
	v_mul_lo_u16_sdwa v41, v59, s3 dst_sel:DWORD dst_unused:UNUSED_PAD src0_sel:BYTE_0 src1_sel:DWORD
	v_mul_lo_u16_e32 v32, 3, v79
	v_lshrrev_b16_e32 v44, 9, v41
	v_sub_u16_e32 v80, v0, v32
	v_mov_b32_e32 v50, 4
	v_mul_lo_u16_e32 v41, 3, v44
	v_lshlrev_b32_sdwa v32, v50, v80 dst_sel:DWORD dst_unused:UNUSED_PAD src0_sel:DWORD src1_sel:BYTE_0
	v_sub_u16_e32 v45, v59, v41
	v_add_u32_e32 v60, 0x7e, v0
	v_lshlrev_b32_sdwa v41, v50, v45 dst_sel:DWORD dst_unused:UNUSED_PAD src0_sel:DWORD src1_sel:BYTE_0
	global_load_dwordx4 v[83:86], v32, s[8:9]
	global_load_dwordx4 v[87:90], v41, s[8:9]
	v_mul_lo_u16_sdwa v32, v60, s3 dst_sel:DWORD dst_unused:UNUSED_PAD src0_sel:BYTE_0 src1_sel:DWORD
	v_lshrrev_b16_e32 v42, 9, v32
	v_mul_lo_u16_e32 v32, 3, v42
	v_sub_u16_e32 v43, v60, v32
	v_lshlrev_b32_sdwa v32, v50, v43 dst_sel:DWORD dst_unused:UNUSED_PAD src0_sel:DWORD src1_sel:BYTE_0
	v_add_u32_e32 v61, 0xbd, v0
	global_load_dwordx4 v[91:94], v32, s[8:9]
	v_mul_lo_u16_sdwa v32, v61, s3 dst_sel:DWORD dst_unused:UNUSED_PAD src0_sel:BYTE_0 src1_sel:DWORD
	v_lshrrev_b16_e32 v32, 9, v32
	v_mul_lo_u16_e32 v41, 3, v32
	v_sub_u16_e32 v41, v61, v41
	v_add_u32_e32 v56, 0xfc, v0
	s_mov_b32 s2, 0xaaab
	v_lshlrev_b32_sdwa v50, v50, v41 dst_sel:DWORD dst_unused:UNUSED_PAD src0_sel:DWORD src1_sel:BYTE_0
	global_load_dwordx4 v[95:98], v50, s[8:9]
	v_mul_u32_u24_sdwa v50, v56, s2 dst_sel:DWORD dst_unused:UNUSED_PAD src0_sel:WORD_0 src1_sel:DWORD
	v_lshrrev_b32_e32 v119, 17, v50
	v_add_u32_e32 v51, 0x13b, v0
	v_mul_lo_u16_e32 v50, 3, v119
	v_mul_u32_u24_sdwa v52, v51, s2 dst_sel:DWORD dst_unused:UNUSED_PAD src0_sel:WORD_0 src1_sel:DWORD
	v_sub_u16_e32 v120, v56, v50
	v_lshlrev_b32_e32 v50, 4, v120
	v_lshrrev_b32_e32 v121, 17, v52
	global_load_dwordx4 v[99:102], v50, s[8:9]
	v_mul_lo_u16_e32 v50, 3, v121
	v_sub_u16_e32 v122, v51, v50
	v_lshlrev_b32_e32 v50, 4, v122
	global_load_dwordx4 v[103:106], v50, s[8:9]
	v_add_u32_e32 v50, 0x17a, v0
	v_mul_u32_u24_sdwa v51, v50, s2 dst_sel:DWORD dst_unused:UNUSED_PAD src0_sel:WORD_0 src1_sel:DWORD
	v_lshrrev_b32_e32 v123, 17, v51
	v_mul_lo_u16_e32 v51, 3, v123
	v_sub_u16_e32 v124, v50, v51
	v_lshlrev_b32_e32 v50, 4, v124
	global_load_dwordx4 v[107:110], v50, s[8:9]
	v_add_u32_e32 v50, 0x1b9, v0
	v_mul_u32_u24_sdwa v51, v50, s2 dst_sel:DWORD dst_unused:UNUSED_PAD src0_sel:WORD_0 src1_sel:DWORD
	v_lshrrev_b32_e32 v125, 17, v51
	;; [unrolled: 7-line block ×3, first 2 shown]
	v_mul_lo_u16_e32 v51, 3, v127
	v_sub_u16_e32 v128, v50, v51
	v_lshlrev_b32_e32 v50, 4, v128
	global_load_dwordx4 v[115:118], v50, s[8:9]
	s_waitcnt lgkmcnt(0)
	; wave barrier
	s_waitcnt vmcnt(8) lgkmcnt(0)
	v_mul_f32_e32 v63, v39, v86
	v_mul_f32_e32 v65, v77, v86
	;; [unrolled: 1-line block ×4, first 2 shown]
	v_fma_f32 v74, v39, v85, -v65
	s_waitcnt vmcnt(7)
	v_mul_f32_e32 v66, v76, v88
	v_fma_f32 v73, v37, v83, -v64
	v_mul_f32_e32 v52, v38, v88
	s_waitcnt vmcnt(6)
	v_mul_f32_e32 v86, v67, v94
	v_mul_f32_e32 v84, v69, v92
	v_mul_f32_e32 v51, v30, v94
	v_fma_f32 v65, v30, v93, -v86
	v_mul_f32_e32 v50, v35, v92
	v_fma_f32 v64, v35, v91, -v84
	v_fmac_f32_e32 v51, v67, v93
	v_mul_f32_e32 v72, v78, v90
	s_waitcnt vmcnt(5)
	v_mul_f32_e32 v30, v70, v96
	v_fma_f32 v39, v36, v95, -v30
	v_mul_f32_e32 v30, v68, v98
	v_fma_f32 v71, v38, v87, -v66
	v_mul_f32_e32 v37, v36, v96
	v_mul_f32_e32 v38, v31, v98
	v_fma_f32 v66, v31, v97, -v30
	v_mul_f32_e32 v55, v40, v90
	v_fma_f32 v72, v40, v89, -v72
	s_waitcnt vmcnt(4)
	v_mul_f32_e32 v35, v28, v100
	v_mul_f32_e32 v67, v53, v102
	;; [unrolled: 1-line block ×4, first 2 shown]
	v_fmac_f32_e32 v35, v57, v99
	v_fma_f32 v57, v26, v101, -v67
	s_waitcnt vmcnt(3)
	v_mul_f32_e32 v26, v58, v104
	v_fma_f32 v40, v28, v99, -v36
	v_fma_f32 v36, v29, v103, -v26
	v_mul_f32_e32 v26, v54, v106
	v_fmac_f32_e32 v31, v53, v101
	v_mul_f32_e32 v28, v27, v106
	v_fma_f32 v53, v27, v105, -v26
	s_waitcnt vmcnt(2)
	v_mul_f32_e32 v27, v47, v108
	v_mul_f32_e32 v30, v29, v104
	;; [unrolled: 1-line block ×3, first 2 shown]
	v_fma_f32 v29, v24, v107, -v27
	v_mul_f32_e32 v27, v22, v110
	v_mul_f32_e32 v24, v33, v110
	v_fmac_f32_e32 v27, v33, v109
	v_fma_f32 v33, v22, v109, -v24
	s_waitcnt vmcnt(1)
	v_mul_f32_e32 v22, v48, v112
	v_mul_f32_e32 v24, v25, v112
	v_fma_f32 v25, v25, v111, -v22
	v_mul_f32_e32 v22, v34, v114
	v_fmac_f32_e32 v26, v47, v107
	v_fmac_f32_e32 v24, v48, v111
	v_mul_f32_e32 v47, v23, v114
	v_fma_f32 v48, v23, v113, -v22
	s_waitcnt vmcnt(0)
	v_mul_f32_e32 v22, v82, v116
	v_fmac_f32_e32 v47, v34, v113
	v_mul_f32_e32 v34, v49, v116
	v_fma_f32 v22, v49, v115, -v22
	v_mul_f32_e32 v49, v5, v118
	v_fmac_f32_e32 v62, v75, v83
	v_fmac_f32_e32 v63, v77, v85
	;; [unrolled: 1-line block ×3, first 2 shown]
	v_mul_f32_e32 v4, v4, v118
	v_fma_f32 v23, v5, v117, -v4
	v_add_f32_e32 v4, v62, v63
	v_fmac_f32_e32 v52, v76, v87
	v_fmac_f32_e32 v55, v78, v89
	v_fma_f32 v4, -0.5, v4, v20
	v_fmac_f32_e32 v30, v58, v103
	v_fmac_f32_e32 v28, v54, v105
	v_sub_f32_e32 v5, v73, v74
	v_mov_b32_e32 v58, v4
	v_add_f32_e32 v54, v52, v55
	v_fmac_f32_e32 v58, 0xbf5db3d7, v5
	v_fmac_f32_e32 v4, 0x3f5db3d7, v5
	v_add_f32_e32 v5, v21, v52
	v_fmac_f32_e32 v21, -0.5, v54
	v_fmac_f32_e32 v50, v69, v91
	v_sub_f32_e32 v54, v71, v72
	v_mov_b32_e32 v67, v21
	v_fmac_f32_e32 v67, 0xbf5db3d7, v54
	v_fmac_f32_e32 v21, 0x3f5db3d7, v54
	v_add_f32_e32 v54, v50, v51
	v_fmac_f32_e32 v38, v68, v97
	v_fma_f32 v68, -0.5, v54, v10
	v_fmac_f32_e32 v37, v70, v95
	v_sub_f32_e32 v54, v64, v65
	v_mov_b32_e32 v69, v68
	v_fmac_f32_e32 v69, 0xbf5db3d7, v54
	v_fmac_f32_e32 v68, 0x3f5db3d7, v54
	v_add_f32_e32 v54, v37, v38
	v_add_f32_e32 v70, v11, v37
	v_fmac_f32_e32 v11, -0.5, v54
	v_sub_f32_e32 v54, v39, v66
	v_mov_b32_e32 v75, v11
	v_fmac_f32_e32 v75, 0xbf5db3d7, v54
	v_fmac_f32_e32 v11, 0x3f5db3d7, v54
	v_add_f32_e32 v54, v35, v31
	v_fma_f32 v76, -0.5, v54, v8
	v_sub_f32_e32 v54, v40, v57
	v_mov_b32_e32 v77, v76
	v_mov_b32_e32 v78, 2
	v_fmac_f32_e32 v77, 0xbf5db3d7, v54
	v_fmac_f32_e32 v76, 0x3f5db3d7, v54
	v_mul_u32_u24_e32 v54, 36, v79
	v_lshlrev_b32_sdwa v79, v78, v80 dst_sel:DWORD dst_unused:UNUSED_PAD src0_sel:DWORD src1_sel:BYTE_0
	v_add_f32_e32 v20, v20, v62
	v_add3_u32 v54, 0, v54, v79
	v_add_f32_e32 v20, v20, v63
	ds_write2_b32 v54, v20, v58 offset1:3
	v_add_f32_e32 v20, v30, v28
	v_add_f32_e32 v58, v9, v30
	v_fmac_f32_e32 v9, -0.5, v20
	v_sub_f32_e32 v20, v36, v53
	v_mov_b32_e32 v79, v9
	v_fmac_f32_e32 v79, 0xbf5db3d7, v20
	v_fmac_f32_e32 v9, 0x3f5db3d7, v20
	v_add_f32_e32 v20, v26, v27
	v_fma_f32 v80, -0.5, v20, v6
	v_fmac_f32_e32 v34, v82, v115
	v_sub_f32_e32 v20, v29, v33
	v_mov_b32_e32 v82, v80
	v_fmac_f32_e32 v82, 0xbf5db3d7, v20
	v_fmac_f32_e32 v80, 0x3f5db3d7, v20
	ds_write_b32 v54, v4 offset:24
	v_mul_u32_u24_e32 v4, 36, v44
	v_lshlrev_b32_sdwa v20, v78, v45 dst_sel:DWORD dst_unused:UNUSED_PAD src0_sel:DWORD src1_sel:BYTE_0
	v_add3_u32 v20, 0, v4, v20
	v_add_f32_e32 v4, v5, v55
	ds_write2_b32 v20, v4, v67 offset1:3
	v_add_f32_e32 v4, v24, v47
	v_add_f32_e32 v44, v7, v24
	v_fmac_f32_e32 v7, -0.5, v4
	v_sub_f32_e32 v5, v25, v48
	v_mov_b32_e32 v83, v7
	v_fmac_f32_e32 v83, 0xbf5db3d7, v5
	v_fmac_f32_e32 v7, 0x3f5db3d7, v5
	v_add_f32_e32 v5, v8, v35
	v_add_f32_e32 v4, v10, v50
	;; [unrolled: 1-line block ×3, first 2 shown]
	v_mul_u32_u24_e32 v5, 36, v42
	v_lshlrev_b32_sdwa v10, v78, v43 dst_sel:DWORD dst_unused:UNUSED_PAD src0_sel:DWORD src1_sel:BYTE_0
	v_add3_u32 v10, 0, v5, v10
	v_add_f32_e32 v5, v34, v49
	v_add_f32_e32 v4, v4, v51
	v_fma_f32 v5, -0.5, v5, v81
	ds_write_b32 v20, v21 offset:24
	ds_write2_b32 v10, v4, v69 offset1:3
	v_sub_f32_e32 v21, v22, v23
	v_mov_b32_e32 v4, v5
	v_fmac_f32_e32 v4, 0xbf5db3d7, v21
	v_fmac_f32_e32 v5, 0x3f5db3d7, v21
	v_mul_u32_u24_e32 v21, 36, v32
	v_lshlrev_b32_sdwa v32, v78, v41 dst_sel:DWORD dst_unused:UNUSED_PAD src0_sel:DWORD src1_sel:BYTE_0
	v_add_f32_e32 v45, v70, v38
	v_add3_u32 v21, 0, v21, v32
	ds_write_b32 v10, v68 offset:24
	ds_write2_b32 v21, v45, v75 offset1:3
	ds_write_b32 v21, v11 offset:24
	v_mul_u32_u24_e32 v11, 36, v119
	v_lshlrev_b32_e32 v32, 2, v120
	v_add_f32_e32 v70, v58, v28
	v_add3_u32 v58, 0, v11, v32
	ds_write2_b32 v58, v8, v77 offset1:3
	ds_write_b32 v58, v76 offset:24
	v_mul_u32_u24_e32 v8, 36, v121
	v_lshlrev_b32_e32 v11, 2, v122
	v_add3_u32 v67, 0, v8, v11
	v_add_f32_e32 v6, v6, v26
	ds_write2_b32 v67, v70, v79 offset1:3
	ds_write_b32 v67, v9 offset:24
	v_mul_u32_u24_e32 v8, 36, v123
	v_lshlrev_b32_e32 v9, 2, v124
	v_add_f32_e32 v6, v6, v27
	v_add3_u32 v70, 0, v8, v9
	ds_write2_b32 v70, v6, v82 offset1:3
	ds_write_b32 v70, v80 offset:24
	v_mul_u32_u24_e32 v6, 36, v125
	v_lshlrev_b32_e32 v8, 2, v126
	v_add_f32_e32 v42, v44, v47
	v_add3_u32 v75, 0, v6, v8
	v_mul_lo_u16_e32 v68, 9, v127
	v_lshlrev_b32_e32 v69, 2, v128
	ds_write2_b32 v75, v42, v83 offset1:3
	ds_write_b32 v75, v7 offset:24
	s_and_saveexec_b64 s[2:3], vcc
	s_cbranch_execz .LBB0_23
; %bb.22:
	v_add_f32_e32 v6, v81, v34
	v_lshlrev_b32_e32 v7, 2, v68
	v_add_f32_e32 v6, v6, v49
	v_add3_u32 v7, 0, v69, v7
	ds_write2_b32 v7, v6, v4 offset1:3
	ds_write_b32 v7, v5 offset:24
.LBB0_23:
	s_or_b64 exec, exec, s[2:3]
	v_add_f32_e32 v6, v12, v73
	v_add_f32_e32 v76, v6, v74
	v_add_f32_e32 v6, v73, v74
	v_fma_f32 v73, -0.5, v6, v12
	v_sub_f32_e32 v6, v62, v63
	v_mov_b32_e32 v62, v73
	v_fmac_f32_e32 v62, 0x3f5db3d7, v6
	v_fmac_f32_e32 v73, 0xbf5db3d7, v6
	v_add_f32_e32 v6, v13, v71
	v_add_f32_e32 v63, v6, v72
	v_add_f32_e32 v6, v71, v72
	v_fmac_f32_e32 v13, -0.5, v6
	v_sub_f32_e32 v6, v52, v55
	v_mov_b32_e32 v55, v13
	v_fmac_f32_e32 v55, 0x3f5db3d7, v6
	v_fmac_f32_e32 v13, 0xbf5db3d7, v6
	v_add_f32_e32 v6, v14, v64
	v_add_f32_e32 v71, v6, v65
	v_add_f32_e32 v6, v64, v65
	v_fma_f32 v64, -0.5, v6, v14
	v_sub_f32_e32 v6, v50, v51
	v_mov_b32_e32 v65, v64
	v_fmac_f32_e32 v65, 0x3f5db3d7, v6
	v_fmac_f32_e32 v64, 0xbf5db3d7, v6
	v_add_f32_e32 v6, v15, v39
	v_add_f32_e32 v72, v6, v66
	v_add_f32_e32 v6, v39, v66
	v_fmac_f32_e32 v15, -0.5, v6
	v_sub_f32_e32 v6, v37, v38
	v_mov_b32_e32 v66, v15
	v_fmac_f32_e32 v66, 0x3f5db3d7, v6
	v_fmac_f32_e32 v15, 0xbf5db3d7, v6
	;; [unrolled: 16-line block ×4, first 2 shown]
	v_add_f32_e32 v6, v22, v23
	v_fma_f32 v7, -0.5, v6, v46
	v_sub_f32_e32 v8, v34, v49
	v_mov_b32_e32 v6, v7
	v_add_u32_e32 v11, 0x200, v1
	v_add_u32_e32 v16, 0x800, v1
	;; [unrolled: 1-line block ×10, first 2 shown]
	v_fmac_f32_e32 v6, 0x3f5db3d7, v8
	v_fmac_f32_e32 v7, 0xbf5db3d7, v8
	s_waitcnt lgkmcnt(0)
	; wave barrier
	s_waitcnt lgkmcnt(0)
	ds_read2_b32 v[24:25], v1 offset1:63
	ds_read2_b32 v[8:9], v11 offset0:124 offset1:187
	ds_read2_b32 v[42:43], v16 offset0:118 offset1:181
	;; [unrolled: 1-line block ×11, first 2 shown]
	ds_read_b32 v12, v1 offset:6048
	s_waitcnt lgkmcnt(0)
	; wave barrier
	s_waitcnt lgkmcnt(0)
	ds_write2_b32 v54, v76, v62 offset1:3
	ds_write_b32 v54, v73 offset:24
	ds_write2_b32 v20, v63, v55 offset1:3
	ds_write_b32 v20, v13 offset:24
	;; [unrolled: 2-line block ×8, first 2 shown]
	s_and_saveexec_b64 s[2:3], vcc
	s_cbranch_execz .LBB0_25
; %bb.24:
	v_add_f32_e32 v10, v46, v22
	v_lshlrev_b32_e32 v13, 2, v68
	v_add_f32_e32 v10, v10, v23
	v_add3_u32 v13, 0, v69, v13
	ds_write2_b32 v13, v10, v6 offset1:3
	ds_write_b32 v13, v7 offset:24
.LBB0_25:
	s_or_b64 exec, exec, s[2:3]
	v_mov_b32_e32 v10, 57
	v_mul_lo_u16_sdwa v13, v0, v10 dst_sel:DWORD dst_unused:UNUSED_PAD src0_sel:BYTE_0 src1_sel:DWORD
	v_lshrrev_b16_e32 v15, 9, v13
	v_mul_lo_u16_e32 v13, 9, v15
	v_sub_u16_e32 v19, v0, v13
	v_mov_b32_e32 v13, 5
	v_lshlrev_b32_sdwa v17, v13, v19 dst_sel:DWORD dst_unused:UNUSED_PAD src0_sel:DWORD src1_sel:BYTE_0
	s_waitcnt lgkmcnt(0)
	; wave barrier
	s_waitcnt lgkmcnt(0)
	global_load_dwordx4 v[62:65], v17, s[8:9] offset:48
	global_load_dwordx4 v[66:69], v17, s[8:9] offset:64
	v_mul_lo_u16_sdwa v17, v59, v10 dst_sel:DWORD dst_unused:UNUSED_PAD src0_sel:BYTE_0 src1_sel:DWORD
	v_lshrrev_b16_e32 v126, 9, v17
	v_mul_lo_u16_e32 v17, 9, v126
	v_sub_u16_e32 v46, v59, v17
	v_lshlrev_b32_sdwa v17, v13, v46 dst_sel:DWORD dst_unused:UNUSED_PAD src0_sel:DWORD src1_sel:BYTE_0
	global_load_dwordx4 v[70:73], v17, s[8:9] offset:48
	global_load_dwordx4 v[90:93], v17, s[8:9] offset:64
	v_mul_lo_u16_sdwa v17, v60, v10 dst_sel:DWORD dst_unused:UNUSED_PAD src0_sel:BYTE_0 src1_sel:DWORD
	v_lshrrev_b16_e32 v127, 9, v17
	v_mul_lo_u16_e32 v17, 9, v127
	v_mul_lo_u16_sdwa v10, v61, v10 dst_sel:DWORD dst_unused:UNUSED_PAD src0_sel:BYTE_0 src1_sel:DWORD
	v_sub_u16_e32 v55, v60, v17
	v_lshrrev_b16_e32 v128, 9, v10
	v_lshlrev_b32_sdwa v17, v13, v55 dst_sel:DWORD dst_unused:UNUSED_PAD src0_sel:DWORD src1_sel:BYTE_0
	v_mul_lo_u16_e32 v10, 9, v128
	global_load_dwordx4 v[94:97], v17, s[8:9] offset:48
	global_load_dwordx4 v[98:101], v17, s[8:9] offset:64
	v_sub_u16_e32 v129, v61, v10
	v_lshlrev_b32_sdwa v13, v13, v129 dst_sel:DWORD dst_unused:UNUSED_PAD src0_sel:DWORD src1_sel:BYTE_0
	s_mov_b32 s2, 0xe38f
	global_load_dwordx4 v[102:105], v13, s[8:9] offset:48
	ds_read2_b32 v[20:21], v1 offset1:63
	ds_read2_b32 v[10:11], v11 offset0:124 offset1:187
	ds_read2_b32 v[53:54], v16 offset0:118 offset1:181
	global_load_dwordx4 v[106:109], v13, s[8:9] offset:64
	v_mul_u32_u24_sdwa v13, v56, s2 dst_sel:DWORD dst_unused:UNUSED_PAD src0_sel:WORD_0 src1_sel:DWORD
	v_lshrrev_b32_e32 v130, 19, v13
	v_mul_lo_u16_e32 v13, 9, v130
	v_sub_u16_e32 v131, v56, v13
	v_lshlrev_b32_e32 v13, 5, v131
	ds_read2_b32 v[57:58], v47 offset0:114 offset1:177
	global_load_dwordx4 v[110:113], v13, s[8:9] offset:64
	global_load_dwordx4 v[114:117], v13, s[8:9] offset:48
	v_mov_b32_e32 v133, 2
	v_lshlrev_b32_sdwa v134, v133, v46 dst_sel:DWORD dst_unused:UNUSED_PAD src0_sel:DWORD src1_sel:BYTE_0
	ds_read2_b32 v[13:14], v14 offset0:108 offset1:171
	ds_read2_b32 v[75:76], v48 offset0:122 offset1:185
	;; [unrolled: 1-line block ×8, first 2 shown]
	ds_read_b32 v132, v1 offset:6048
	v_lshlrev_b32_sdwa v19, v133, v19 dst_sel:DWORD dst_unused:UNUSED_PAD src0_sel:DWORD src1_sel:BYTE_0
	v_mul_u32_u24_e32 v15, 0xb4, v15
	s_waitcnt lgkmcnt(0)
	; wave barrier
	s_waitcnt lgkmcnt(0)
	v_cmp_gt_u32_e32 vcc, 36, v0
	s_waitcnt vmcnt(9)
	v_mul_f32_e32 v87, v11, v63
	v_mul_f32_e32 v46, v9, v63
	v_fmac_f32_e32 v87, v9, v62
	v_mul_f32_e32 v86, v53, v65
	v_mul_f32_e32 v63, v42, v65
	v_fma_f32 v82, v11, v62, -v46
	s_waitcnt vmcnt(7)
	v_mul_f32_e32 v9, v40, v71
	v_mul_f32_e32 v79, v54, v73
	;; [unrolled: 1-line block ×3, first 2 shown]
	v_fma_f32 v73, v75, v70, -v9
	v_mul_f32_e32 v88, v58, v67
	v_mul_f32_e32 v65, v29, v67
	v_fmac_f32_e32 v86, v42, v64
	v_fma_f32 v83, v53, v64, -v63
	v_mul_f32_e32 v67, v44, v69
	s_waitcnt vmcnt(5)
	v_mul_f32_e32 v9, v41, v95
	v_fma_f32 v64, v76, v94, -v9
	v_mul_f32_e32 v9, v36, v97
	v_fmac_f32_e32 v88, v29, v66
	v_fma_f32 v84, v58, v66, -v65
	v_fma_f32 v66, v118, v96, -v9
	s_waitcnt vmcnt(4)
	v_mul_f32_e32 v9, v39, v99
	v_fma_f32 v85, v13, v68, -v67
	v_fma_f32 v67, v18, v98, -v9
	v_mul_f32_e32 v9, v34, v101
	v_mul_f32_e32 v89, v13, v69
	v_fma_f32 v69, v120, v100, -v9
	s_waitcnt vmcnt(3)
	v_mul_f32_e32 v9, v32, v103
	v_mul_f32_e32 v81, v14, v93
	v_fma_f32 v74, v54, v72, -v11
	v_fma_f32 v11, v122, v102, -v9
	v_mul_f32_e32 v9, v37, v105
	v_mul_f32_e32 v29, v45, v93
	v_fmac_f32_e32 v81, v45, v92
	v_fma_f32 v45, v119, v104, -v9
	s_waitcnt vmcnt(2)
	v_mul_f32_e32 v9, v30, v107
	v_fma_f32 v53, v124, v106, -v9
	v_mul_f32_e32 v9, v35, v109
	v_mul_f32_e32 v78, v75, v71
	v_fma_f32 v54, v121, v108, -v9
	s_waitcnt vmcnt(0)
	v_mul_f32_e32 v9, v33, v115
	v_fmac_f32_e32 v78, v40, v70
	v_mul_f32_e32 v70, v76, v95
	v_fma_f32 v40, v123, v114, -v9
	v_mul_f32_e32 v9, v28, v117
	v_fmac_f32_e32 v70, v41, v94
	v_fma_f32 v41, v57, v116, -v9
	v_mul_f32_e32 v9, v31, v111
	v_fma_f32 v42, v125, v110, -v9
	v_mul_f32_e32 v9, v12, v113
	v_fmac_f32_e32 v79, v43, v72
	v_fma_f32 v43, v132, v112, -v9
	v_add_f32_e32 v9, v24, v87
	v_add_f32_e32 v9, v9, v86
	v_fmac_f32_e32 v89, v44, v68
	v_mul_f32_e32 v44, v57, v117
	v_add_f32_e32 v9, v9, v88
	v_mul_f32_e32 v65, v124, v107
	v_fmac_f32_e32 v44, v28, v116
	v_add_f32_e32 v28, v9, v89
	v_add_f32_e32 v9, v86, v88
	v_fmac_f32_e32 v65, v30, v106
	v_mul_f32_e32 v46, v125, v111
	v_fma_f32 v30, -0.5, v9, v24
	v_mul_f32_e32 v13, v38, v91
	v_fma_f32 v77, v14, v92, -v29
	v_lshlrev_b32_sdwa v14, v133, v55 dst_sel:DWORD dst_unused:UNUSED_PAD src0_sel:DWORD src1_sel:BYTE_0
	v_mul_f32_e32 v62, v122, v103
	v_fmac_f32_e32 v46, v31, v110
	v_mul_f32_e32 v55, v132, v113
	v_sub_f32_e32 v9, v82, v85
	v_mov_b32_e32 v31, v30
	v_fma_f32 v75, v17, v90, -v13
	v_fmac_f32_e32 v62, v32, v102
	v_fmac_f32_e32 v55, v12, v112
	;; [unrolled: 1-line block ×3, first 2 shown]
	v_sub_f32_e32 v12, v83, v84
	v_sub_f32_e32 v13, v87, v86
	;; [unrolled: 1-line block ×3, first 2 shown]
	v_fmac_f32_e32 v30, 0x3f737871, v9
	v_fmac_f32_e32 v31, 0xbf167918, v12
	v_add_f32_e32 v13, v13, v32
	v_fmac_f32_e32 v30, 0x3f167918, v12
	v_fmac_f32_e32 v31, 0x3e9e377a, v13
	;; [unrolled: 1-line block ×3, first 2 shown]
	v_add_f32_e32 v13, v87, v89
	v_fma_f32 v24, -0.5, v13, v24
	v_mov_b32_e32 v32, v24
	v_fmac_f32_e32 v32, 0x3f737871, v12
	v_fmac_f32_e32 v24, 0xbf737871, v12
	v_mul_f32_e32 v80, v17, v91
	v_fmac_f32_e32 v32, 0xbf167918, v9
	v_fmac_f32_e32 v24, 0x3f167918, v9
	v_add_f32_e32 v9, v25, v78
	v_fmac_f32_e32 v80, v38, v90
	v_mul_f32_e32 v17, v123, v115
	v_add_f32_e32 v9, v9, v79
	v_fmac_f32_e32 v17, v33, v114
	v_sub_f32_e32 v13, v86, v87
	v_sub_f32_e32 v33, v88, v89
	v_add_f32_e32 v9, v9, v80
	v_mul_f32_e32 v76, v120, v101
	v_add_f32_e32 v13, v13, v33
	v_add_f32_e32 v33, v9, v81
	;; [unrolled: 1-line block ×3, first 2 shown]
	v_fmac_f32_e32 v76, v34, v100
	v_mul_f32_e32 v68, v121, v109
	v_fma_f32 v34, -0.5, v9, v25
	v_mul_f32_e32 v71, v118, v97
	v_fmac_f32_e32 v68, v35, v108
	v_sub_f32_e32 v9, v73, v77
	v_mov_b32_e32 v35, v34
	v_fmac_f32_e32 v71, v36, v96
	v_fmac_f32_e32 v32, 0x3e9e377a, v13
	;; [unrolled: 1-line block ×4, first 2 shown]
	v_sub_f32_e32 v12, v74, v75
	v_sub_f32_e32 v13, v78, v79
	v_sub_f32_e32 v36, v81, v80
	v_fmac_f32_e32 v34, 0x3f737871, v9
	v_fmac_f32_e32 v35, 0xbf167918, v12
	v_add_f32_e32 v13, v13, v36
	v_fmac_f32_e32 v34, 0x3f167918, v12
	v_fmac_f32_e32 v35, 0x3e9e377a, v13
	;; [unrolled: 1-line block ×3, first 2 shown]
	v_add_f32_e32 v13, v78, v81
	v_fmac_f32_e32 v25, -0.5, v13
	v_mov_b32_e32 v36, v25
	v_fmac_f32_e32 v36, 0x3f737871, v12
	v_fmac_f32_e32 v25, 0xbf737871, v12
	v_mul_f32_e32 v72, v18, v99
	v_fmac_f32_e32 v36, 0xbf167918, v9
	v_fmac_f32_e32 v25, 0x3f167918, v9
	v_add_f32_e32 v9, v26, v70
	v_fmac_f32_e32 v72, v39, v98
	v_mul_f32_e32 v63, v119, v105
	v_add_f32_e32 v9, v9, v71
	v_fmac_f32_e32 v63, v37, v104
	v_sub_f32_e32 v13, v79, v78
	v_sub_f32_e32 v37, v80, v81
	v_add_f32_e32 v9, v9, v72
	v_add_f32_e32 v13, v13, v37
	;; [unrolled: 1-line block ×4, first 2 shown]
	v_fma_f32 v38, -0.5, v9, v26
	v_sub_f32_e32 v9, v64, v69
	v_mov_b32_e32 v39, v38
	v_fmac_f32_e32 v36, 0x3e9e377a, v13
	v_fmac_f32_e32 v25, 0x3e9e377a, v13
	;; [unrolled: 1-line block ×3, first 2 shown]
	v_sub_f32_e32 v12, v66, v67
	v_sub_f32_e32 v13, v70, v71
	;; [unrolled: 1-line block ×3, first 2 shown]
	v_fmac_f32_e32 v38, 0x3f737871, v9
	v_fmac_f32_e32 v39, 0xbf167918, v12
	v_add_f32_e32 v13, v13, v57
	v_fmac_f32_e32 v38, 0x3f167918, v12
	v_fmac_f32_e32 v39, 0x3e9e377a, v13
	;; [unrolled: 1-line block ×3, first 2 shown]
	v_add_f32_e32 v13, v70, v76
	v_fma_f32 v26, -0.5, v13, v26
	v_mov_b32_e32 v57, v26
	v_fmac_f32_e32 v57, 0x3f737871, v12
	v_fmac_f32_e32 v26, 0xbf737871, v12
	;; [unrolled: 1-line block ×4, first 2 shown]
	v_add_f32_e32 v9, v27, v62
	v_add_f32_e32 v9, v9, v63
	v_sub_f32_e32 v13, v71, v70
	v_sub_f32_e32 v58, v72, v76
	v_add_f32_e32 v9, v9, v65
	v_add_f32_e32 v13, v13, v58
	v_add_f32_e32 v58, v9, v68
	v_add_f32_e32 v9, v63, v65
	v_fma_f32 v94, -0.5, v9, v27
	v_sub_f32_e32 v9, v11, v54
	v_mov_b32_e32 v95, v94
	v_fmac_f32_e32 v57, 0x3e9e377a, v13
	v_fmac_f32_e32 v26, 0x3e9e377a, v13
	;; [unrolled: 1-line block ×3, first 2 shown]
	v_sub_f32_e32 v12, v45, v53
	v_sub_f32_e32 v13, v62, v63
	;; [unrolled: 1-line block ×3, first 2 shown]
	v_fmac_f32_e32 v94, 0x3f737871, v9
	v_fmac_f32_e32 v95, 0xbf167918, v12
	v_add_f32_e32 v13, v13, v90
	v_fmac_f32_e32 v94, 0x3f167918, v12
	v_fmac_f32_e32 v95, 0x3e9e377a, v13
	;; [unrolled: 1-line block ×3, first 2 shown]
	v_add_f32_e32 v13, v62, v68
	v_fmac_f32_e32 v27, -0.5, v13
	v_mov_b32_e32 v96, v27
	v_fmac_f32_e32 v96, 0x3f737871, v12
	v_fmac_f32_e32 v27, 0xbf737871, v12
	;; [unrolled: 1-line block ×4, first 2 shown]
	v_add_f32_e32 v9, v8, v17
	v_add_f32_e32 v9, v9, v44
	;; [unrolled: 1-line block ×5, first 2 shown]
	v_sub_f32_e32 v13, v63, v62
	v_sub_f32_e32 v90, v65, v68
	v_fma_f32 v9, -0.5, v9, v8
	v_add_f32_e32 v13, v13, v90
	v_sub_f32_e32 v90, v40, v43
	v_mov_b32_e32 v12, v9
	v_fmac_f32_e32 v96, 0x3e9e377a, v13
	v_fmac_f32_e32 v27, 0x3e9e377a, v13
	;; [unrolled: 1-line block ×3, first 2 shown]
	v_sub_f32_e32 v91, v41, v42
	v_sub_f32_e32 v13, v17, v44
	;; [unrolled: 1-line block ×3, first 2 shown]
	v_fmac_f32_e32 v9, 0x3f737871, v90
	v_fmac_f32_e32 v12, 0xbf167918, v91
	v_add_f32_e32 v13, v13, v92
	v_fmac_f32_e32 v9, 0x3f167918, v91
	v_fmac_f32_e32 v12, 0x3e9e377a, v13
	;; [unrolled: 1-line block ×3, first 2 shown]
	v_add_f32_e32 v13, v17, v55
	v_fmac_f32_e32 v8, -0.5, v13
	v_mov_b32_e32 v13, v8
	v_fmac_f32_e32 v13, 0x3f737871, v91
	v_fmac_f32_e32 v8, 0xbf737871, v91
	;; [unrolled: 1-line block ×3, first 2 shown]
	v_sub_f32_e32 v92, v44, v17
	v_sub_f32_e32 v93, v46, v55
	v_fmac_f32_e32 v8, 0x3f167918, v90
	v_add3_u32 v90, 0, v15, v19
	v_mul_u32_u24_e32 v15, 0xb4, v126
	v_add_f32_e32 v92, v92, v93
	v_add3_u32 v91, 0, v15, v134
	v_mul_u32_u24_e32 v15, 0xb4, v127
	v_lshlrev_b32_sdwa v18, v133, v129 dst_sel:DWORD dst_unused:UNUSED_PAD src0_sel:DWORD src1_sel:BYTE_0
	v_fmac_f32_e32 v13, 0x3e9e377a, v92
	v_fmac_f32_e32 v8, 0x3e9e377a, v92
	v_add3_u32 v92, 0, v15, v14
	v_mul_u32_u24_e32 v14, 0xb4, v128
	v_lshlrev_b32_e32 v29, 2, v131
	v_add3_u32 v93, 0, v14, v18
	v_mul_u32_u24_e32 v14, 0xb4, v130
	ds_write2_b32 v90, v28, v31 offset1:9
	ds_write2_b32 v90, v32, v24 offset0:18 offset1:27
	ds_write_b32 v90, v30 offset:144
	ds_write2_b32 v91, v33, v35 offset1:9
	ds_write2_b32 v91, v36, v25 offset0:18 offset1:27
	ds_write_b32 v91, v34 offset:144
	;; [unrolled: 3-line block ×4, first 2 shown]
	v_add3_u32 v94, 0, v14, v29
	ds_write2_b32 v94, v97, v12 offset1:9
	ds_write2_b32 v94, v13, v8 offset0:18 offset1:27
	ds_write_b32 v94, v9 offset:144
	s_waitcnt lgkmcnt(0)
	; wave barrier
	s_waitcnt lgkmcnt(0)
	ds_read2_b32 v[18:19], v1 offset1:63
	ds_read2_b32 v[14:15], v1 offset0:126 offset1:225
	ds_read2_b32 v[38:39], v52 offset0:66 offset1:129
	;; [unrolled: 1-line block ×9, first 2 shown]
	ds_read_b32 v58, v1 offset:5904
                                        ; implicit-def: $vgpr57
	s_and_saveexec_b64 s[2:3], vcc
	s_cbranch_execz .LBB0_27
; %bb.26:
	v_add_u32_e32 v4, 0x280, v1
	ds_read2_b32 v[12:13], v4 offset0:29 offset1:254
	v_add_u32_e32 v4, 0x9c0, v1
	ds_read2_b32 v[8:9], v4 offset0:15 offset1:240
	;; [unrolled: 2-line block ×3, first 2 shown]
	ds_read_b32 v57, v1 offset:6156
.LBB0_27:
	s_or_b64 exec, exec, s[2:3]
	v_add_f32_e32 v16, v20, v82
	v_add_f32_e32 v16, v16, v83
	;; [unrolled: 1-line block ×5, first 2 shown]
	v_fma_f32 v48, -0.5, v16, v20
	v_sub_f32_e32 v16, v87, v89
	v_mov_b32_e32 v49, v48
	v_fmac_f32_e32 v49, 0x3f737871, v16
	v_sub_f32_e32 v50, v86, v88
	v_sub_f32_e32 v51, v82, v83
	;; [unrolled: 1-line block ×3, first 2 shown]
	v_fmac_f32_e32 v48, 0xbf737871, v16
	v_fmac_f32_e32 v49, 0x3f167918, v50
	v_add_f32_e32 v51, v51, v52
	v_fmac_f32_e32 v48, 0xbf167918, v50
	v_fmac_f32_e32 v49, 0x3e9e377a, v51
	;; [unrolled: 1-line block ×3, first 2 shown]
	v_add_f32_e32 v51, v82, v85
	v_fma_f32 v20, -0.5, v51, v20
	v_mov_b32_e32 v51, v20
	v_fmac_f32_e32 v51, 0xbf737871, v50
	v_fmac_f32_e32 v20, 0x3f737871, v50
	;; [unrolled: 1-line block ×4, first 2 shown]
	v_add_f32_e32 v16, v21, v73
	v_add_f32_e32 v16, v16, v74
	v_sub_f32_e32 v52, v83, v82
	v_sub_f32_e32 v82, v84, v85
	v_add_f32_e32 v16, v16, v75
	v_add_f32_e32 v52, v52, v82
	;; [unrolled: 1-line block ×4, first 2 shown]
	v_fmac_f32_e32 v51, 0x3e9e377a, v52
	v_fmac_f32_e32 v20, 0x3e9e377a, v52
	v_fma_f32 v52, -0.5, v16, v21
	v_sub_f32_e32 v16, v78, v81
	v_mov_b32_e32 v78, v52
	v_fmac_f32_e32 v78, 0x3f737871, v16
	v_sub_f32_e32 v79, v79, v80
	v_sub_f32_e32 v80, v73, v74
	v_sub_f32_e32 v81, v77, v75
	v_fmac_f32_e32 v52, 0xbf737871, v16
	v_fmac_f32_e32 v78, 0x3f167918, v79
	v_add_f32_e32 v80, v80, v81
	v_fmac_f32_e32 v52, 0xbf167918, v79
	v_fmac_f32_e32 v78, 0x3e9e377a, v80
	v_fmac_f32_e32 v52, 0x3e9e377a, v80
	v_add_f32_e32 v80, v73, v77
	v_fmac_f32_e32 v21, -0.5, v80
	v_mov_b32_e32 v80, v21
	v_fmac_f32_e32 v80, 0xbf737871, v79
	v_fmac_f32_e32 v21, 0x3f737871, v79
	;; [unrolled: 1-line block ×4, first 2 shown]
	v_add_f32_e32 v16, v22, v64
	v_sub_f32_e32 v73, v74, v73
	v_sub_f32_e32 v74, v75, v77
	v_add_f32_e32 v16, v16, v66
	v_add_f32_e32 v73, v73, v74
	;; [unrolled: 1-line block ×3, first 2 shown]
	v_fmac_f32_e32 v80, 0x3e9e377a, v73
	v_fmac_f32_e32 v21, 0x3e9e377a, v73
	v_add_f32_e32 v73, v16, v69
	v_add_f32_e32 v16, v66, v67
	v_fma_f32 v74, -0.5, v16, v22
	v_sub_f32_e32 v16, v70, v76
	v_mov_b32_e32 v70, v74
	v_fmac_f32_e32 v70, 0x3f737871, v16
	v_sub_f32_e32 v71, v71, v72
	v_sub_f32_e32 v72, v64, v66
	;; [unrolled: 1-line block ×3, first 2 shown]
	v_fmac_f32_e32 v74, 0xbf737871, v16
	v_fmac_f32_e32 v70, 0x3f167918, v71
	v_add_f32_e32 v72, v72, v75
	v_fmac_f32_e32 v74, 0xbf167918, v71
	v_fmac_f32_e32 v70, 0x3e9e377a, v72
	v_fmac_f32_e32 v74, 0x3e9e377a, v72
	v_add_f32_e32 v72, v64, v69
	v_fma_f32 v22, -0.5, v72, v22
	v_mov_b32_e32 v72, v22
	v_fmac_f32_e32 v72, 0xbf737871, v71
	v_fmac_f32_e32 v22, 0x3f737871, v71
	;; [unrolled: 1-line block ×4, first 2 shown]
	v_add_f32_e32 v16, v23, v11
	v_sub_f32_e32 v64, v66, v64
	v_sub_f32_e32 v66, v67, v69
	v_add_f32_e32 v16, v16, v45
	v_add_f32_e32 v64, v64, v66
	;; [unrolled: 1-line block ×3, first 2 shown]
	v_fmac_f32_e32 v72, 0x3e9e377a, v64
	v_fmac_f32_e32 v22, 0x3e9e377a, v64
	v_add_f32_e32 v64, v16, v54
	v_add_f32_e32 v16, v45, v53
	v_fma_f32 v66, -0.5, v16, v23
	v_sub_f32_e32 v16, v62, v68
	v_mov_b32_e32 v62, v66
	v_fmac_f32_e32 v62, 0x3f737871, v16
	v_sub_f32_e32 v63, v63, v65
	v_sub_f32_e32 v65, v11, v45
	;; [unrolled: 1-line block ×3, first 2 shown]
	v_fmac_f32_e32 v66, 0xbf737871, v16
	v_fmac_f32_e32 v62, 0x3f167918, v63
	v_add_f32_e32 v65, v65, v67
	v_fmac_f32_e32 v66, 0xbf167918, v63
	v_fmac_f32_e32 v62, 0x3e9e377a, v65
	;; [unrolled: 1-line block ×3, first 2 shown]
	v_add_f32_e32 v65, v11, v54
	v_fmac_f32_e32 v23, -0.5, v65
	v_mov_b32_e32 v65, v23
	v_fmac_f32_e32 v65, 0xbf737871, v63
	v_sub_f32_e32 v11, v45, v11
	v_sub_f32_e32 v45, v53, v54
	v_fmac_f32_e32 v23, 0x3f737871, v63
	v_fmac_f32_e32 v65, 0x3f167918, v16
	v_add_f32_e32 v11, v11, v45
	v_fmac_f32_e32 v23, 0xbf167918, v16
	v_fmac_f32_e32 v65, 0x3e9e377a, v11
	;; [unrolled: 1-line block ×3, first 2 shown]
	v_add_f32_e32 v11, v10, v40
	v_add_f32_e32 v11, v11, v41
	;; [unrolled: 1-line block ×5, first 2 shown]
	v_fma_f32 v11, -0.5, v11, v10
	v_sub_f32_e32 v53, v17, v55
	v_mov_b32_e32 v16, v11
	v_fmac_f32_e32 v16, 0x3f737871, v53
	v_sub_f32_e32 v44, v44, v46
	v_sub_f32_e32 v17, v40, v41
	;; [unrolled: 1-line block ×3, first 2 shown]
	v_fmac_f32_e32 v11, 0xbf737871, v53
	v_fmac_f32_e32 v16, 0x3f167918, v44
	v_add_f32_e32 v17, v17, v46
	v_fmac_f32_e32 v11, 0xbf167918, v44
	v_fmac_f32_e32 v16, 0x3e9e377a, v17
	;; [unrolled: 1-line block ×3, first 2 shown]
	v_add_f32_e32 v17, v40, v43
	v_fmac_f32_e32 v10, -0.5, v17
	v_mov_b32_e32 v17, v10
	v_fmac_f32_e32 v17, 0xbf737871, v44
	v_sub_f32_e32 v40, v41, v40
	v_sub_f32_e32 v41, v42, v43
	v_fmac_f32_e32 v10, 0x3f737871, v44
	v_fmac_f32_e32 v17, 0x3f167918, v53
	v_add_f32_e32 v40, v40, v41
	v_fmac_f32_e32 v10, 0xbf167918, v53
	v_fmac_f32_e32 v17, 0x3e9e377a, v40
	v_fmac_f32_e32 v10, 0x3e9e377a, v40
	v_add_u32_e32 v40, 0x600, v1
	v_add_u32_e32 v43, 0x1400, v1
	s_waitcnt lgkmcnt(0)
	; wave barrier
	s_waitcnt lgkmcnt(0)
	ds_write2_b32 v90, v47, v49 offset1:9
	ds_write2_b32 v90, v51, v20 offset0:18 offset1:27
	ds_write_b32 v90, v48 offset:144
	ds_write2_b32 v91, v50, v78 offset1:9
	ds_write2_b32 v91, v80, v21 offset0:18 offset1:27
	ds_write_b32 v91, v52 offset:144
	;; [unrolled: 3-line block ×5, first 2 shown]
	s_waitcnt lgkmcnt(0)
	; wave barrier
	s_waitcnt lgkmcnt(0)
	ds_read2_b32 v[22:23], v1 offset1:63
	ds_read2_b32 v[20:21], v1 offset0:126 offset1:225
	ds_read2_b32 v[54:55], v40 offset0:66 offset1:129
	v_add_u32_e32 v40, 0x800, v1
	ds_read2_b32 v[50:51], v43 offset0:70 offset1:133
	v_add_u32_e32 v43, 0x400, v1
	;; [unrolled: 2-line block ×3, first 2 shown]
	v_add_u32_e32 v42, 0x1000, v1
	ds_read2_b32 v[48:49], v43 offset0:32 offset1:95
	v_add_u32_e32 v43, 0xa00, v1
	ds_read2_b32 v[52:53], v40 offset0:132 offset1:195
	ds_read2_b32 v[40:41], v42 offset0:2 offset1:101
	;; [unrolled: 1-line block ×4, first 2 shown]
	ds_read_b32 v78, v1 offset:5904
                                        ; implicit-def: $vgpr77
	s_and_saveexec_b64 s[2:3], vcc
	s_cbranch_execz .LBB0_29
; %bb.28:
	v_add_u32_e32 v6, 0x280, v1
	ds_read2_b32 v[16:17], v6 offset0:29 offset1:254
	v_add_u32_e32 v6, 0x9c0, v1
	ds_read2_b32 v[10:11], v6 offset0:15 offset1:240
	;; [unrolled: 2-line block ×3, first 2 shown]
	ds_read_b32 v77, v1 offset:6156
.LBB0_29:
	s_or_b64 exec, exec, s[2:3]
	v_subrev_u32_e32 v62, 45, v0
	v_cmp_gt_u32_e64 s[2:3], 45, v0
	v_cndmask_b32_e64 v123, v62, v0, s[2:3]
	v_mul_i32_i24_e32 v62, 6, v123
	v_mov_b32_e32 v63, 0
	v_lshlrev_b64 v[62:63], 3, v[62:63]
	v_mov_b32_e32 v64, s9
	v_add_co_u32_e64 v62, s[2:3], s8, v62
	v_addc_co_u32_e64 v63, s[2:3], v64, v63, s[2:3]
	s_movk_i32 s2, 0x6d
	global_load_dwordx4 v[71:74], v[62:63], off offset:336
	global_load_dwordx4 v[79:82], v[62:63], off offset:352
	;; [unrolled: 1-line block ×3, first 2 shown]
	v_mul_lo_u16_sdwa v63, v59, s2 dst_sel:DWORD dst_unused:UNUSED_PAD src0_sel:BYTE_0 src1_sel:DWORD
	v_sub_u16_sdwa v64, v59, v63 dst_sel:DWORD dst_unused:UNUSED_PAD src0_sel:DWORD src1_sel:BYTE_1
	v_lshrrev_b16_e32 v64, 1, v64
	v_and_b32_e32 v64, 0x7f, v64
	v_add_u16_sdwa v63, v64, v63 dst_sel:DWORD dst_unused:UNUSED_PAD src0_sel:DWORD src1_sel:BYTE_1
	v_lshrrev_b16_e32 v124, 5, v63
	v_mul_lo_u16_e32 v63, 45, v124
	v_mov_b32_e32 v62, 6
	v_sub_u16_e32 v125, v59, v63
	v_mul_lo_u16_sdwa v64, v60, s2 dst_sel:DWORD dst_unused:UNUSED_PAD src0_sel:BYTE_0 src1_sel:DWORD
	v_mul_u32_u24_sdwa v63, v125, v62 dst_sel:DWORD dst_unused:UNUSED_PAD src0_sel:BYTE_0 src1_sel:DWORD
	v_sub_u16_sdwa v65, v60, v64 dst_sel:DWORD dst_unused:UNUSED_PAD src0_sel:DWORD src1_sel:BYTE_1
	v_lshlrev_b32_e32 v63, 3, v63
	v_lshrrev_b16_e32 v65, 1, v65
	global_load_dwordx4 v[87:90], v63, s[8:9] offset:336
	global_load_dwordx4 v[91:94], v63, s[8:9] offset:352
	;; [unrolled: 1-line block ×3, first 2 shown]
	v_and_b32_e32 v63, 0x7f, v65
	v_add_u16_sdwa v63, v63, v64 dst_sel:DWORD dst_unused:UNUSED_PAD src0_sel:DWORD src1_sel:BYTE_1
	v_lshrrev_b16_e32 v126, 5, v63
	v_mul_lo_u16_e32 v63, 45, v126
	v_sub_u16_e32 v127, v60, v63
	v_mul_lo_u16_sdwa v63, v61, s2 dst_sel:DWORD dst_unused:UNUSED_PAD src0_sel:BYTE_0 src1_sel:DWORD
	v_sub_u16_sdwa v64, v61, v63 dst_sel:DWORD dst_unused:UNUSED_PAD src0_sel:DWORD src1_sel:BYTE_1
	v_mul_u32_u24_sdwa v62, v127, v62 dst_sel:DWORD dst_unused:UNUSED_PAD src0_sel:BYTE_0 src1_sel:DWORD
	v_lshrrev_b16_e32 v64, 1, v64
	v_lshlrev_b32_e32 v62, 3, v62
	v_and_b32_e32 v64, 0x7f, v64
	global_load_dwordx4 v[99:102], v62, s[8:9] offset:336
	global_load_dwordx4 v[103:106], v62, s[8:9] offset:352
	;; [unrolled: 1-line block ×3, first 2 shown]
	v_add_u16_sdwa v62, v64, v63 dst_sel:DWORD dst_unused:UNUSED_PAD src0_sel:DWORD src1_sel:BYTE_1
	v_lshrrev_b16_e32 v62, 5, v62
	v_mul_lo_u16_e32 v62, 45, v62
	v_sub_u16_e32 v62, v61, v62
	v_and_b32_e32 v128, 0xff, v62
	v_mul_u32_u24_e32 v62, 6, v128
	v_lshlrev_b32_e32 v62, 3, v62
	global_load_dwordx4 v[111:114], v62, s[8:9] offset:336
	global_load_dwordx4 v[115:118], v62, s[8:9] offset:368
	;; [unrolled: 1-line block ×3, first 2 shown]
	s_mov_b32 s4, 0xbf5ff5aa
	s_mov_b32 s5, 0x3f3bfb3b
	;; [unrolled: 1-line block ×4, first 2 shown]
	v_cmp_lt_u32_e64 s[2:3], 44, v0
	s_waitcnt lgkmcnt(0)
	; wave barrier
	s_waitcnt vmcnt(11) lgkmcnt(0)
	v_mul_f32_e32 v65, v21, v72
	v_mul_f32_e32 v62, v15, v72
	v_fmac_f32_e32 v65, v15, v71
	s_waitcnt vmcnt(9)
	v_mul_f32_e32 v15, v34, v86
	v_mul_f32_e32 v66, v54, v74
	;; [unrolled: 1-line block ×4, first 2 shown]
	v_fma_f32 v71, v21, v71, -v62
	v_fma_f32 v76, v50, v85, -v15
	v_mul_f32_e32 v67, v45, v80
	v_mul_f32_e32 v70, v50, v86
	v_fmac_f32_e32 v66, v38, v73
	v_fma_f32 v72, v54, v73, -v63
	v_fma_f32 v73, v45, v79, -v64
	v_mul_f32_e32 v68, v52, v82
	v_mul_f32_e32 v74, v36, v82
	s_waitcnt vmcnt(8)
	v_mul_f32_e32 v15, v32, v88
	v_mul_f32_e32 v21, v39, v90
	;; [unrolled: 1-line block ×4, first 2 shown]
	v_fma_f32 v48, v48, v87, -v15
	v_fma_f32 v55, v55, v89, -v21
	s_waitcnt vmcnt(7)
	v_mul_f32_e32 v15, v37, v94
	v_mul_f32_e32 v54, v53, v94
	v_fmac_f32_e32 v45, v32, v87
	v_fma_f32 v53, v53, v93, -v15
	s_waitcnt vmcnt(6)
	v_mul_f32_e32 v15, v26, v96
	v_mul_f32_e32 v64, v51, v98
	v_fmac_f32_e32 v68, v36, v81
	s_waitcnt vmcnt(5)
	v_mul_f32_e32 v21, v33, v100
	v_fma_f32 v32, v49, v99, -v21
	v_mul_f32_e32 v21, v28, v102
	v_fma_f32 v63, v42, v95, -v15
	v_fmac_f32_e32 v64, v35, v97
	v_mul_f32_e32 v15, v35, v98
	v_fma_f32 v36, v44, v101, -v21
	s_waitcnt vmcnt(4)
	v_mul_f32_e32 v35, v47, v104
	v_mul_f32_e32 v21, v31, v104
	v_fmac_f32_e32 v35, v31, v103
	v_fma_f32 v31, v47, v103, -v21
	v_mul_f32_e32 v38, v40, v106
	v_mul_f32_e32 v21, v24, v106
	v_fmac_f32_e32 v38, v24, v105
	v_fma_f32 v24, v40, v105, -v21
	s_waitcnt vmcnt(3)
	v_mul_f32_e32 v21, v27, v108
	v_fma_f32 v40, v43, v107, -v21
	v_mul_f32_e32 v21, v58, v110
	v_mul_f32_e32 v69, v41, v84
	v_fma_f32 v74, v52, v81, -v74
	v_mul_f32_e32 v52, v46, v92
	v_mul_f32_e32 v62, v42, v96
	v_fma_f32 v42, v78, v109, -v21
	s_waitcnt vmcnt(2)
	v_mul_f32_e32 v21, v17, v112
	v_mul_f32_e32 v75, v25, v84
	v_fmac_f32_e32 v69, v25, v83
	v_mul_f32_e32 v25, v30, v92
	v_fmac_f32_e32 v52, v30, v91
	v_fmac_f32_e32 v21, v13, v111
	v_mul_f32_e32 v13, v13, v112
	s_waitcnt vmcnt(0)
	v_mul_f32_e32 v30, v6, v122
	v_fmac_f32_e32 v62, v26, v95
	v_fma_f32 v26, v17, v111, -v13
	v_mul_f32_e32 v17, v10, v114
	v_fmac_f32_e32 v30, v4, v121
	v_mul_f32_e32 v4, v4, v122
	v_fma_f32 v46, v46, v91, -v25
	v_fma_f32 v51, v51, v97, -v15
	v_mul_f32_e32 v15, v49, v100
	v_mul_f32_e32 v25, v44, v102
	v_fmac_f32_e32 v17, v8, v113
	v_mul_f32_e32 v8, v8, v114
	v_fma_f32 v6, v6, v121, -v4
	v_mul_f32_e32 v4, v5, v116
	v_fmac_f32_e32 v70, v34, v85
	v_fmac_f32_e32 v15, v33, v99
	;; [unrolled: 1-line block ×3, first 2 shown]
	v_fma_f32 v28, v10, v113, -v8
	v_mul_f32_e32 v8, v9, v120
	v_mul_f32_e32 v33, v7, v116
	v_fma_f32 v7, v7, v115, -v4
	v_mul_f32_e32 v4, v57, v118
	v_fmac_f32_e32 v67, v29, v79
	v_fmac_f32_e32 v50, v39, v89
	;; [unrolled: 1-line block ×3, first 2 shown]
	v_mul_f32_e32 v39, v43, v108
	v_fma_f32 v29, v11, v119, -v8
	v_fma_f32 v37, v77, v117, -v4
	v_add_f32_e32 v4, v65, v70
	v_add_f32_e32 v8, v66, v69
	v_fma_f32 v75, v41, v83, -v75
	v_fmac_f32_e32 v39, v27, v107
	v_mul_f32_e32 v27, v11, v120
	v_add_f32_e32 v10, v67, v68
	v_add_f32_e32 v13, v8, v4
	v_fmac_f32_e32 v27, v9, v119
	v_sub_f32_e32 v9, v72, v75
	v_sub_f32_e32 v11, v74, v73
	;; [unrolled: 1-line block ×5, first 2 shown]
	v_add_f32_e32 v10, v10, v13
	v_fmac_f32_e32 v33, v5, v115
	v_sub_f32_e32 v5, v71, v76
	v_add_f32_e32 v44, v11, v9
	v_sub_f32_e32 v47, v11, v9
	v_add_f32_e32 v13, v18, v10
	v_sub_f32_e32 v11, v5, v11
	v_sub_f32_e32 v9, v9, v5
	v_add_f32_e32 v5, v44, v5
	v_mul_f32_e32 v4, 0x3f4a47b2, v4
	v_mul_f32_e32 v18, 0x3d64c772, v8
	;; [unrolled: 1-line block ×3, first 2 shown]
	v_mov_b32_e32 v49, v13
	v_mul_f32_e32 v47, 0xbf5ff5aa, v9
	v_fmac_f32_e32 v49, 0xbf955555, v10
	v_fma_f32 v10, v43, s5, -v18
	v_fma_f32 v18, v43, s6, -v4
	v_fmac_f32_e32 v4, 0x3d64c772, v8
	v_fma_f32 v8, v9, s4, -v44
	v_fmac_f32_e32 v44, 0xbeae86e6, v11
	v_fma_f32 v9, v11, s7, -v47
	v_add_f32_e32 v4, v4, v49
	v_add_f32_e32 v10, v10, v49
	v_fmac_f32_e32 v44, 0xbee1c552, v5
	v_fmac_f32_e32 v8, 0xbee1c552, v5
	v_mul_f32_e32 v41, v78, v110
	v_fmac_f32_e32 v9, 0xbee1c552, v5
	v_add_f32_e32 v5, v44, v4
	v_sub_f32_e32 v43, v10, v8
	v_add_f32_e32 v8, v8, v10
	v_sub_f32_e32 v4, v4, v44
	v_add_f32_e32 v10, v45, v64
	v_add_f32_e32 v44, v50, v62
	v_fmac_f32_e32 v41, v58, v109
	v_mul_f32_e32 v34, v77, v118
	v_add_f32_e32 v11, v18, v49
	v_add_f32_e32 v49, v52, v54
	;; [unrolled: 1-line block ×3, first 2 shown]
	v_fmac_f32_e32 v34, v57, v117
	v_add_f32_e32 v18, v9, v11
	v_sub_f32_e32 v9, v11, v9
	v_sub_f32_e32 v11, v48, v51
	;; [unrolled: 1-line block ×7, first 2 shown]
	v_add_f32_e32 v49, v49, v58
	v_add_f32_e32 v78, v57, v47
	v_sub_f32_e32 v79, v57, v47
	v_sub_f32_e32 v47, v47, v11
	v_add_f32_e32 v19, v19, v49
	v_sub_f32_e32 v57, v11, v57
	v_add_f32_e32 v11, v78, v11
	v_mul_f32_e32 v10, 0x3f4a47b2, v10
	v_mul_f32_e32 v58, 0x3d64c772, v44
	;; [unrolled: 1-line block ×4, first 2 shown]
	v_mov_b32_e32 v80, v19
	v_fmac_f32_e32 v80, 0xbf955555, v49
	v_fma_f32 v49, v77, s5, -v58
	v_fma_f32 v58, v77, s6, -v10
	v_fmac_f32_e32 v10, 0x3d64c772, v44
	v_fma_f32 v44, v47, s4, -v78
	v_fmac_f32_e32 v78, 0xbeae86e6, v57
	v_fma_f32 v47, v57, s7, -v79
	v_add_f32_e32 v10, v10, v80
	v_add_f32_e32 v57, v58, v80
	v_fmac_f32_e32 v78, 0xbee1c552, v11
	v_fmac_f32_e32 v47, 0xbee1c552, v11
	;; [unrolled: 1-line block ×3, first 2 shown]
	v_add_f32_e32 v11, v78, v10
	v_add_f32_e32 v58, v47, v57
	v_sub_f32_e32 v57, v57, v47
	v_sub_f32_e32 v10, v10, v78
	v_add_f32_e32 v47, v15, v41
	v_add_f32_e32 v78, v25, v39
	;; [unrolled: 1-line block ×5, first 2 shown]
	v_sub_f32_e32 v79, v36, v40
	v_sub_f32_e32 v81, v24, v31
	;; [unrolled: 1-line block ×5, first 2 shown]
	v_add_f32_e32 v80, v80, v82
	v_sub_f32_e32 v77, v49, v44
	v_add_f32_e32 v44, v44, v49
	v_sub_f32_e32 v49, v32, v42
	;; [unrolled: 2-line block ×4, first 2 shown]
	v_sub_f32_e32 v79, v79, v49
	v_add_f32_e32 v49, v84, v49
	v_mul_f32_e32 v47, 0x3f4a47b2, v47
	v_mul_f32_e32 v82, 0x3d64c772, v78
	v_mul_f32_e32 v84, 0x3f08b237, v85
	v_mov_b32_e32 v86, v14
	v_fmac_f32_e32 v86, 0xbf955555, v80
	v_fma_f32 v80, v83, s5, -v82
	v_fma_f32 v82, v83, s6, -v47
	v_fmac_f32_e32 v47, 0x3d64c772, v78
	v_fma_f32 v78, v79, s4, -v84
	v_fmac_f32_e32 v84, 0xbeae86e6, v81
	v_mul_f32_e32 v85, 0xbf5ff5aa, v79
	v_add_f32_e32 v47, v47, v86
	v_add_f32_e32 v80, v80, v86
	v_fmac_f32_e32 v84, 0xbee1c552, v49
	v_fmac_f32_e32 v78, 0xbee1c552, v49
	v_fma_f32 v79, v81, s7, -v85
	v_add_f32_e32 v81, v82, v86
	v_add_f32_e32 v82, v84, v47
	v_sub_f32_e32 v85, v80, v78
	v_add_f32_e32 v78, v78, v80
	v_sub_f32_e32 v80, v47, v84
	v_mov_b32_e32 v47, 0x4ec
	v_fmac_f32_e32 v79, 0xbee1c552, v49
	v_cndmask_b32_e64 v47, 0, v47, s[2:3]
	v_lshlrev_b32_e32 v49, 2, v123
	v_add3_u32 v47, 0, v47, v49
	ds_write2_b32 v47, v13, v5 offset1:45
	ds_write2_b32 v47, v18, v43 offset0:90 offset1:135
	ds_write2_b32 v47, v8, v9 offset0:180 offset1:225
	ds_write_b32 v47, v4 offset:1080
	v_mov_b32_e32 v5, 2
	v_mul_u32_u24_e32 v4, 0x4ec, v124
	v_lshlrev_b32_sdwa v8, v5, v125 dst_sel:DWORD dst_unused:UNUSED_PAD src0_sel:DWORD src1_sel:BYTE_0
	v_add3_u32 v49, 0, v4, v8
	v_mul_u32_u24_e32 v4, 0x4ec, v126
	v_lshlrev_b32_sdwa v5, v5, v127 dst_sel:DWORD dst_unused:UNUSED_PAD src0_sel:DWORD src1_sel:BYTE_0
	ds_write2_b32 v49, v19, v11 offset1:45
	ds_write2_b32 v49, v58, v77 offset0:90 offset1:135
	ds_write2_b32 v49, v44, v57 offset0:180 offset1:225
	ds_write_b32 v49, v10 offset:1080
	v_add3_u32 v57, 0, v4, v5
	v_lshl_add_u32 v44, v128, 2, 0
	v_add_f32_e32 v83, v79, v81
	v_sub_f32_e32 v79, v81, v79
	ds_write2_b32 v57, v14, v82 offset1:45
	ds_write2_b32 v57, v83, v85 offset0:90 offset1:135
	ds_write2_b32 v57, v78, v79 offset0:180 offset1:225
	ds_write_b32 v57, v80 offset:1080
	s_and_saveexec_b64 s[2:3], vcc
	s_cbranch_execz .LBB0_31
; %bb.30:
	v_add_f32_e32 v4, v21, v34
	v_add_f32_e32 v5, v27, v30
	v_sub_f32_e32 v8, v4, v5
	v_mul_f32_e32 v8, 0x3f4a47b2, v8
	v_add_f32_e32 v9, v17, v33
	v_sub_f32_e32 v10, v5, v9
	v_mov_b32_e32 v13, v8
	v_mul_f32_e32 v11, 0x3d64c772, v10
	v_fmac_f32_e32 v13, 0x3d64c772, v10
	v_add_f32_e32 v10, v9, v4
	v_add_f32_e32 v5, v5, v10
	;; [unrolled: 1-line block ×3, first 2 shown]
	v_mov_b32_e32 v12, v10
	v_sub_f32_e32 v14, v6, v29
	v_sub_f32_e32 v19, v28, v7
	v_fmac_f32_e32 v12, 0xbf955555, v5
	v_sub_f32_e32 v43, v14, v19
	v_add_f32_e32 v5, v13, v12
	v_sub_f32_e32 v13, v26, v37
	v_mul_f32_e32 v43, 0x3f08b237, v43
	v_sub_f32_e32 v18, v13, v14
	v_mov_b32_e32 v58, v43
	v_add_f32_e32 v14, v14, v19
	v_sub_f32_e32 v4, v9, v4
	v_sub_f32_e32 v9, v19, v13
	v_fmac_f32_e32 v58, 0xbeae86e6, v18
	v_add_f32_e32 v14, v14, v13
	v_fma_f32 v8, v4, s6, -v8
	v_mul_f32_e32 v13, 0xbf5ff5aa, v9
	v_fma_f32 v9, v9, s4, -v43
	v_fma_f32 v4, v4, s5, -v11
	v_fmac_f32_e32 v58, 0xbee1c552, v14
	v_fma_f32 v13, v18, s7, -v13
	v_fmac_f32_e32 v9, 0xbee1c552, v14
	v_add_f32_e32 v4, v4, v12
	v_sub_f32_e32 v77, v5, v58
	v_add_f32_e32 v8, v8, v12
	v_fmac_f32_e32 v13, 0xbee1c552, v14
	v_add_f32_e32 v11, v9, v4
	v_sub_f32_e32 v4, v4, v9
	v_add_f32_e32 v5, v58, v5
	v_add_u32_e32 v9, 0x1200, v44
	v_sub_f32_e32 v18, v8, v13
	v_add_f32_e32 v8, v13, v8
	ds_write2_b32 v9, v10, v5 offset0:108 offset1:153
	v_add_u32_e32 v5, 0x1400, v44
	ds_write2_b32 v5, v8, v4 offset0:70 offset1:115
	ds_write2_b32 v5, v11, v18 offset0:160 offset1:205
	ds_write_b32 v44, v77 offset:6120
.LBB0_31:
	s_or_b64 exec, exec, s[2:3]
	v_add_f32_e32 v4, v71, v76
	v_add_f32_e32 v8, v72, v75
	;; [unrolled: 1-line block ×4, first 2 shown]
	v_sub_f32_e32 v9, v66, v69
	v_sub_f32_e32 v11, v68, v67
	;; [unrolled: 1-line block ×5, first 2 shown]
	v_add_f32_e32 v10, v10, v12
	v_sub_f32_e32 v5, v65, v70
	v_add_f32_e32 v14, v11, v9
	v_sub_f32_e32 v18, v11, v9
	;; [unrolled: 2-line block ×3, first 2 shown]
	v_sub_f32_e32 v9, v9, v5
	v_add_f32_e32 v5, v14, v5
	v_mul_f32_e32 v4, 0x3f4a47b2, v4
	v_mul_f32_e32 v12, 0x3d64c772, v8
	;; [unrolled: 1-line block ×3, first 2 shown]
	v_mov_b32_e32 v19, v22
	v_fmac_f32_e32 v19, 0xbf955555, v10
	v_fma_f32 v10, v13, s5, -v12
	v_fma_f32 v12, v13, s6, -v4
	v_fmac_f32_e32 v4, 0x3d64c772, v8
	v_fma_f32 v8, v9, s4, -v14
	v_fmac_f32_e32 v14, 0xbeae86e6, v11
	v_mul_f32_e32 v18, 0xbf5ff5aa, v9
	v_add_f32_e32 v4, v4, v19
	v_add_f32_e32 v10, v10, v19
	v_fmac_f32_e32 v14, 0xbee1c552, v5
	v_fmac_f32_e32 v8, 0xbee1c552, v5
	v_fma_f32 v9, v11, s7, -v18
	v_sub_f32_e32 v58, v4, v14
	v_add_f32_e32 v66, v8, v10
	v_sub_f32_e32 v67, v10, v8
	v_add_f32_e32 v69, v14, v4
	v_add_f32_e32 v4, v48, v51
	;; [unrolled: 1-line block ×4, first 2 shown]
	v_fmac_f32_e32 v9, 0xbee1c552, v5
	v_add_f32_e32 v10, v46, v53
	v_add_f32_e32 v12, v8, v4
	v_sub_f32_e32 v65, v11, v9
	v_add_f32_e32 v68, v9, v11
	v_sub_f32_e32 v9, v50, v62
	v_sub_f32_e32 v11, v54, v52
	;; [unrolled: 1-line block ×5, first 2 shown]
	v_add_f32_e32 v10, v10, v12
	v_sub_f32_e32 v5, v45, v64
	v_add_f32_e32 v14, v11, v9
	v_sub_f32_e32 v18, v11, v9
	;; [unrolled: 2-line block ×3, first 2 shown]
	v_sub_f32_e32 v9, v9, v5
	v_add_f32_e32 v5, v14, v5
	v_mul_f32_e32 v4, 0x3f4a47b2, v4
	v_mul_f32_e32 v12, 0x3d64c772, v8
	;; [unrolled: 1-line block ×3, first 2 shown]
	v_mov_b32_e32 v19, v23
	v_fmac_f32_e32 v19, 0xbf955555, v10
	v_fma_f32 v10, v13, s5, -v12
	v_fma_f32 v12, v13, s6, -v4
	v_fmac_f32_e32 v4, 0x3d64c772, v8
	v_fma_f32 v8, v9, s4, -v14
	v_fmac_f32_e32 v14, 0xbeae86e6, v11
	v_mul_f32_e32 v18, 0xbf5ff5aa, v9
	v_add_f32_e32 v4, v4, v19
	v_add_f32_e32 v10, v10, v19
	v_fmac_f32_e32 v14, 0xbee1c552, v5
	v_fmac_f32_e32 v8, 0xbee1c552, v5
	v_fma_f32 v9, v11, s7, -v18
	v_sub_f32_e32 v45, v4, v14
	v_add_f32_e32 v48, v8, v10
	v_sub_f32_e32 v50, v10, v8
	v_add_f32_e32 v52, v14, v4
	v_add_f32_e32 v4, v32, v42
	;; [unrolled: 1-line block ×4, first 2 shown]
	v_fmac_f32_e32 v9, 0xbee1c552, v5
	v_add_f32_e32 v10, v31, v24
	v_add_f32_e32 v12, v8, v4
	v_sub_f32_e32 v46, v11, v9
	v_add_f32_e32 v51, v9, v11
	v_sub_f32_e32 v9, v25, v39
	v_sub_f32_e32 v11, v38, v35
	v_sub_f32_e32 v13, v8, v4
	v_sub_f32_e32 v4, v4, v10
	v_sub_f32_e32 v8, v10, v8
	v_add_f32_e32 v10, v10, v12
	v_sub_f32_e32 v5, v15, v41
	v_add_f32_e32 v14, v11, v9
	v_sub_f32_e32 v15, v11, v9
	;; [unrolled: 2-line block ×3, first 2 shown]
	v_sub_f32_e32 v9, v9, v5
	v_add_f32_e32 v5, v14, v5
	v_mul_f32_e32 v4, 0x3f4a47b2, v4
	v_mul_f32_e32 v12, 0x3d64c772, v8
	;; [unrolled: 1-line block ×3, first 2 shown]
	v_mov_b32_e32 v18, v53
	v_fmac_f32_e32 v18, 0xbf955555, v10
	v_fma_f32 v10, v13, s5, -v12
	v_fma_f32 v12, v13, s6, -v4
	v_fmac_f32_e32 v4, 0x3d64c772, v8
	v_fma_f32 v8, v9, s4, -v14
	v_mul_f32_e32 v15, 0xbf5ff5aa, v9
	v_add_f32_e32 v10, v10, v18
	v_fmac_f32_e32 v8, 0xbee1c552, v5
	v_fmac_f32_e32 v14, 0xbeae86e6, v11
	v_fma_f32 v9, v11, s7, -v15
	v_add_f32_e32 v62, v8, v10
	v_sub_f32_e32 v63, v10, v8
	v_add_u32_e32 v8, 0x200, v1
	v_add_f32_e32 v4, v4, v18
	v_add_f32_e32 v11, v12, v18
	v_fmac_f32_e32 v14, 0xbee1c552, v5
	v_fmac_f32_e32 v9, 0xbee1c552, v5
	s_waitcnt lgkmcnt(0)
	; wave barrier
	s_waitcnt lgkmcnt(0)
	ds_read2_b32 v[12:13], v8 offset0:124 offset1:187
	v_add_u32_e32 v8, 0x800, v1
	v_add_u32_e32 v18, 0x400, v1
	v_sub_f32_e32 v54, v4, v14
	v_sub_f32_e32 v55, v11, v9
	v_add_f32_e32 v64, v9, v11
	v_add_f32_e32 v70, v14, v4
	ds_read2_b32 v[10:11], v8 offset0:118 offset1:181
	v_add_u32_e32 v8, 0xc00, v1
	v_add_u32_e32 v14, 0x1200, v1
	ds_read2_b32 v[24:25], v18 offset0:122 offset1:185
	v_add_u32_e32 v18, 0xe00, v1
	v_add_u32_e32 v20, 0xa00, v1
	ds_read2_b32 v[4:5], v1 offset1:63
	ds_read2_b32 v[8:9], v8 offset0:114 offset1:177
	ds_read2_b32 v[14:15], v14 offset0:108 offset1:171
	;; [unrolled: 1-line block ×5, first 2 shown]
	v_add_u32_e32 v20, 0x1400, v1
	ds_read2_b32 v[40:41], v20 offset0:106 offset1:169
	v_add_u32_e32 v20, 0x600, v1
	ds_read2_b32 v[38:39], v20 offset0:120 offset1:183
	;; [unrolled: 2-line block ×3, first 2 shown]
	ds_read_b32 v20, v1 offset:6048
	s_waitcnt lgkmcnt(0)
	; wave barrier
	s_waitcnt lgkmcnt(0)
	ds_write2_b32 v47, v22, v58 offset1:45
	ds_write2_b32 v47, v65, v66 offset0:90 offset1:135
	ds_write2_b32 v47, v67, v68 offset0:180 offset1:225
	ds_write_b32 v47, v69 offset:1080
	ds_write2_b32 v49, v23, v45 offset1:45
	ds_write2_b32 v49, v46, v48 offset0:90 offset1:135
	ds_write2_b32 v49, v50, v51 offset0:180 offset1:225
	ds_write_b32 v49, v52 offset:1080
	;; [unrolled: 4-line block ×3, first 2 shown]
	s_and_saveexec_b64 s[2:3], vcc
	s_cbranch_execz .LBB0_33
; %bb.32:
	v_add_f32_e32 v22, v26, v37
	v_add_f32_e32 v7, v28, v7
	;; [unrolled: 1-line block ×4, first 2 shown]
	v_sub_f32_e32 v23, v30, v27
	v_sub_f32_e32 v27, v7, v22
	;; [unrolled: 1-line block ×4, first 2 shown]
	v_add_f32_e32 v6, v6, v26
	v_sub_f32_e32 v17, v17, v33
	v_add_f32_e32 v16, v16, v6
	v_sub_f32_e32 v21, v21, v34
	;; [unrolled: 2-line block ×3, first 2 shown]
	v_mul_f32_e32 v26, 0x3d64c772, v7
	v_mov_b32_e32 v30, v16
	v_sub_f32_e32 v23, v21, v23
	v_sub_f32_e32 v17, v17, v21
	v_add_f32_e32 v21, v28, v21
	v_mul_f32_e32 v22, 0x3f4a47b2, v22
	v_mul_f32_e32 v28, 0x3f08b237, v29
	v_fmac_f32_e32 v30, 0xbf955555, v6
	v_fma_f32 v6, v27, s5, -v26
	s_mov_b32 s5, 0xbf3bfb3b
	v_mul_f32_e32 v29, 0xbf5ff5aa, v17
	v_fma_f32 v26, v27, s5, -v22
	v_fmac_f32_e32 v22, 0x3d64c772, v7
	v_fma_f32 v7, v17, s4, -v28
	s_mov_b32 s4, 0x3eae86e6
	v_fmac_f32_e32 v28, 0xbeae86e6, v23
	v_fma_f32 v17, v23, s4, -v29
	v_add_f32_e32 v22, v22, v30
	v_add_f32_e32 v6, v6, v30
	;; [unrolled: 1-line block ×3, first 2 shown]
	v_fmac_f32_e32 v28, 0xbee1c552, v21
	v_fmac_f32_e32 v7, 0xbee1c552, v21
	;; [unrolled: 1-line block ×3, first 2 shown]
	v_sub_f32_e32 v21, v22, v28
	v_sub_f32_e32 v26, v23, v17
	v_add_f32_e32 v27, v7, v6
	v_sub_f32_e32 v6, v6, v7
	v_add_f32_e32 v7, v17, v23
	v_add_f32_e32 v17, v28, v22
	v_add_u32_e32 v22, 0x1200, v44
	ds_write2_b32 v22, v16, v21 offset0:108 offset1:153
	v_add_u32_e32 v16, 0x1400, v44
	ds_write2_b32 v16, v26, v27 offset0:70 offset1:115
	ds_write2_b32 v16, v6, v7 offset0:160 offset1:205
	ds_write_b32 v44, v17 offset:6120
.LBB0_33:
	s_or_b64 exec, exec, s[2:3]
	s_waitcnt lgkmcnt(0)
	; wave barrier
	s_waitcnt lgkmcnt(0)
	s_and_saveexec_b64 s[2:3], s[0:1]
	s_cbranch_execz .LBB0_35
; %bb.34:
	v_lshlrev_b32_e32 v6, 2, v56
	v_mov_b32_e32 v7, 0
	v_lshlrev_b64 v[16:17], 3, v[6:7]
	v_mov_b32_e32 v45, s9
	v_add_co_u32_e32 v16, vcc, s8, v16
	v_addc_co_u32_e32 v17, vcc, v45, v17, vcc
	global_load_dwordx4 v[46:49], v[16:17], off offset:2496
	global_load_dwordx4 v[50:53], v[16:17], off offset:2512
	v_add_u32_e32 v6, 0xc00, v1
	v_add_u32_e32 v16, 0x600, v1
	;; [unrolled: 1-line block ×3, first 2 shown]
	ds_read_b32 v21, v1 offset:6048
	ds_read2_b32 v[29:30], v6 offset0:114 offset1:177
	ds_read2_b32 v[54:55], v16 offset0:120 offset1:183
	;; [unrolled: 1-line block ×3, first 2 shown]
	v_lshlrev_b32_e32 v6, 2, v61
	v_lshlrev_b64 v[16:17], 3, v[6:7]
	v_add_u32_e32 v22, 0x200, v1
	v_add_co_u32_e32 v16, vcc, s8, v16
	v_addc_co_u32_e32 v17, vcc, v45, v17, vcc
	global_load_dwordx4 v[61:64], v[16:17], off offset:2512
	global_load_dwordx4 v[65:68], v[16:17], off offset:2496
	ds_read2_b32 v[33:34], v22 offset0:124 offset1:187
	s_movk_i32 s0, 0x1000
	s_waitcnt vmcnt(3)
	v_mul_f32_e32 v6, v8, v49
	v_mul_f32_e32 v16, v39, v47
	s_waitcnt vmcnt(2)
	v_mul_f32_e32 v22, v20, v53
	v_mul_f32_e32 v17, v43, v51
	s_waitcnt lgkmcnt(3)
	v_mul_f32_e32 v28, v29, v49
	s_waitcnt lgkmcnt(1)
	v_mul_f32_e32 v37, v58, v51
	v_mul_f32_e32 v44, v55, v47
	;; [unrolled: 1-line block ×3, first 2 shown]
	v_fma_f32 v6, v48, v29, -v6
	v_fma_f32 v29, v46, v55, -v16
	;; [unrolled: 1-line block ×4, first 2 shown]
	v_fmac_f32_e32 v28, v8, v48
	v_fmac_f32_e32 v37, v43, v50
	;; [unrolled: 1-line block ×4, first 2 shown]
	v_add_f32_e32 v17, v29, v51
	v_sub_f32_e32 v20, v28, v44
	v_sub_f32_e32 v21, v37, v47
	s_waitcnt lgkmcnt(0)
	v_fma_f32 v23, -0.5, v17, v33
	v_sub_f32_e32 v39, v28, v37
	v_add_f32_e32 v50, v6, v49
	v_add_f32_e32 v58, v20, v21
	v_mov_b32_e32 v21, v23
	v_sub_f32_e32 v8, v6, v29
	v_sub_f32_e32 v16, v49, v51
	;; [unrolled: 1-line block ×5, first 2 shown]
	v_fma_f32 v17, -0.5, v50, v33
	v_fmac_f32_e32 v23, 0xbf737871, v39
	v_fmac_f32_e32 v21, 0x3f737871, v39
	v_add_f32_e32 v8, v8, v16
	v_add_f32_e32 v69, v26, v27
	v_mov_b32_e32 v27, v17
	v_fmac_f32_e32 v23, 0x3f167918, v43
	v_fmac_f32_e32 v21, 0xbf167918, v43
	;; [unrolled: 1-line block ×6, first 2 shown]
	v_add_f32_e32 v8, v29, v33
	v_sub_f32_e32 v48, v6, v49
	v_fmac_f32_e32 v17, 0xbf167918, v39
	v_fmac_f32_e32 v27, 0x3f167918, v39
	v_add_f32_e32 v6, v6, v8
	v_add_u32_e32 v8, 0xa00, v1
	v_fmac_f32_e32 v27, 0x3e9e377a, v69
	v_fmac_f32_e32 v17, 0x3e9e377a, v69
	v_add_f32_e32 v6, v49, v6
	ds_read2_b32 v[69:70], v8 offset0:116 offset1:179
	v_sub_f32_e32 v46, v29, v51
	v_add_f32_e32 v29, v51, v6
	v_add_f32_e32 v6, v12, v44
	;; [unrolled: 1-line block ×4, first 2 shown]
	v_sub_f32_e32 v52, v44, v28
	v_add_f32_e32 v55, v28, v37
	v_add_f32_e32 v28, v6, v47
	s_waitcnt vmcnt(0)
	v_mul_f32_e32 v6, v36, v68
	v_add_f32_e32 v22, v44, v47
	s_waitcnt lgkmcnt(0)
	v_fma_f32 v8, v67, v70, -v6
	v_mul_f32_e32 v6, v38, v66
	v_fma_f32 v22, -0.5, v22, v12
	v_fma_f32 v16, -0.5, v55, v12
	v_fma_f32 v12, v65, v54, -v6
	v_mul_f32_e32 v6, v42, v62
	v_fma_f32 v55, v61, v57, -v6
	v_add_u32_e32 v6, 0x1400, v1
	ds_read2_b32 v[71:72], v6 offset0:106 offset1:169
	v_lshlrev_b32_e32 v6, 2, v60
	v_lshlrev_b64 v[43:44], 3, v[6:7]
	v_mov_b32_e32 v26, v16
	v_sub_f32_e32 v53, v47, v37
	v_mov_b32_e32 v20, v22
	v_fmac_f32_e32 v26, 0xbf737871, v46
	v_fmac_f32_e32 v16, 0x3f737871, v46
	v_add_co_u32_e32 v43, vcc, s8, v43
	v_add_f32_e32 v50, v52, v53
	v_fmac_f32_e32 v22, 0x3f737871, v48
	v_fmac_f32_e32 v20, 0xbf737871, v48
	;; [unrolled: 1-line block ×4, first 2 shown]
	v_addc_co_u32_e32 v44, vcc, v45, v44, vcc
	v_fmac_f32_e32 v22, 0xbf167918, v46
	v_fmac_f32_e32 v20, 0x3f167918, v46
	v_fmac_f32_e32 v26, 0x3e9e377a, v50
	v_fmac_f32_e32 v16, 0x3e9e377a, v50
	global_load_dwordx4 v[46:49], v[43:44], off offset:2512
	global_load_dwordx4 v[50:53], v[43:44], off offset:2496
	v_mul_f32_e32 v60, v70, v68
	v_fmac_f32_e32 v60, v36, v67
	ds_read2_b32 v[67:68], v1 offset0:126 offset1:189
	v_mul_f32_e32 v37, v41, v64
	s_waitcnt lgkmcnt(1)
	v_fma_f32 v6, v63, v72, -v37
	v_sub_f32_e32 v33, v8, v12
	v_sub_f32_e32 v37, v55, v6
	v_mul_f32_e32 v57, v57, v62
	v_mul_f32_e32 v54, v54, v66
	;; [unrolled: 1-line block ×3, first 2 shown]
	v_fmac_f32_e32 v22, 0x3e9e377a, v58
	v_fmac_f32_e32 v20, 0x3e9e377a, v58
	v_add_f32_e32 v58, v33, v37
	v_fmac_f32_e32 v57, v42, v61
	v_add_f32_e32 v33, v12, v6
	v_fmac_f32_e32 v54, v38, v65
	v_fmac_f32_e32 v62, v41, v63
	s_waitcnt lgkmcnt(0)
	v_fma_f32 v39, -0.5, v33, v68
	v_sub_f32_e32 v33, v60, v54
	v_sub_f32_e32 v36, v57, v62
	v_add_f32_e32 v64, v33, v36
	v_add_f32_e32 v33, v54, v62
	v_fma_f32 v38, -0.5, v33, v32
	v_sub_f32_e32 v33, v12, v8
	v_sub_f32_e32 v41, v6, v55
	;; [unrolled: 1-line block ×3, first 2 shown]
	v_add_f32_e32 v70, v33, v41
	v_add_f32_e32 v33, v8, v55
	;; [unrolled: 1-line block ×3, first 2 shown]
	v_sub_f32_e32 v66, v8, v55
	v_fma_f32 v42, -0.5, v33, v68
	v_sub_f32_e32 v33, v54, v60
	v_sub_f32_e32 v41, v62, v57
	v_add_f32_e32 v8, v8, v12
	v_add_f32_e32 v72, v33, v41
	;; [unrolled: 1-line block ×4, first 2 shown]
	v_fma_f32 v41, -0.5, v33, v32
	v_add_f32_e32 v33, v6, v8
	v_add_f32_e32 v6, v32, v54
	;; [unrolled: 1-line block ×3, first 2 shown]
	v_sub_f32_e32 v61, v60, v57
	v_mov_b32_e32 v37, v39
	v_add_f32_e32 v6, v6, v57
	v_fmac_f32_e32 v37, 0x3f737871, v61
	v_sub_f32_e32 v63, v54, v62
	v_add_f32_e32 v32, v6, v62
	v_fmac_f32_e32 v39, 0xbf737871, v61
	v_add_u32_e32 v6, 0x400, v1
	v_fmac_f32_e32 v37, 0xbf167918, v63
	v_fmac_f32_e32 v39, 0x3f167918, v63
	ds_read2_b32 v[54:55], v6 offset0:122 offset1:185
	v_lshlrev_b32_e32 v6, 2, v59
	v_fmac_f32_e32 v37, 0x3e9e377a, v58
	v_mov_b32_e32 v36, v38
	v_fmac_f32_e32 v39, 0x3e9e377a, v58
	v_lshlrev_b64 v[57:58], 3, v[6:7]
	v_fmac_f32_e32 v36, 0xbf737871, v66
	v_mov_b32_e32 v43, v41
	v_fmac_f32_e32 v38, 0x3f737871, v66
	v_fmac_f32_e32 v36, 0x3f167918, v65
	v_mov_b32_e32 v44, v42
	v_fmac_f32_e32 v43, 0xbf737871, v65
	v_fmac_f32_e32 v38, 0xbf167918, v65
	;; [unrolled: 1-line block ×3, first 2 shown]
	v_add_co_u32_e32 v65, vcc, s8, v57
	v_fmac_f32_e32 v44, 0x3f737871, v63
	v_fmac_f32_e32 v43, 0xbf167918, v66
	;; [unrolled: 1-line block ×4, first 2 shown]
	v_addc_co_u32_e32 v66, vcc, v45, v58, vcc
	v_add_u32_e32 v12, 0xe00, v1
	v_fmac_f32_e32 v36, 0x3e9e377a, v64
	v_fmac_f32_e32 v44, 0x3f167918, v61
	;; [unrolled: 1-line block ×4, first 2 shown]
	global_load_dwordx4 v[57:60], v[65:66], off offset:2512
	global_load_dwordx4 v[61:64], v[65:66], off offset:2496
	ds_read2_b32 v[65:66], v12 offset0:112 offset1:175
	s_waitcnt vmcnt(2)
	v_mul_f32_e32 v6, v25, v51
	s_waitcnt lgkmcnt(1)
	v_mul_f32_e32 v51, v55, v51
	v_mul_f32_e32 v68, v40, v49
	v_fmac_f32_e32 v51, v25, v50
	v_mul_f32_e32 v25, v71, v49
	v_fma_f32 v73, v48, v71, -v68
	v_fmac_f32_e32 v25, v40, v48
	v_mul_f32_e32 v48, v69, v53
	v_mul_f32_e32 v8, v35, v53
	;; [unrolled: 1-line block ×3, first 2 shown]
	v_fmac_f32_e32 v48, v35, v52
	s_waitcnt lgkmcnt(0)
	v_mul_f32_e32 v35, v66, v47
	v_fma_f32 v6, v50, v55, -v6
	v_fma_f32 v8, v52, v69, -v8
	;; [unrolled: 1-line block ×3, first 2 shown]
	v_fmac_f32_e32 v35, v19, v46
	v_sub_f32_e32 v12, v6, v8
	v_sub_f32_e32 v68, v73, v75
	;; [unrolled: 1-line block ×4, first 2 shown]
	v_add_f32_e32 v12, v12, v68
	v_add_f32_e32 v68, v8, v75
	;; [unrolled: 1-line block ×4, first 2 shown]
	v_fmac_f32_e32 v44, 0x3e9e377a, v70
	v_fmac_f32_e32 v42, 0x3e9e377a, v70
	v_fma_f32 v70, -0.5, v68, v67
	v_fma_f32 v69, -0.5, v47, v31
	v_fmac_f32_e32 v43, 0x3e9e377a, v72
	v_fmac_f32_e32 v41, 0x3e9e377a, v72
	v_sub_f32_e32 v40, v51, v25
	v_mov_b32_e32 v72, v70
	v_sub_f32_e32 v47, v6, v73
	v_mov_b32_e32 v71, v69
	v_fmac_f32_e32 v72, 0xbf737871, v40
	v_sub_f32_e32 v19, v48, v35
	v_fmac_f32_e32 v71, 0x3f737871, v47
	v_sub_f32_e32 v49, v8, v75
	v_fmac_f32_e32 v70, 0x3f737871, v40
	v_fmac_f32_e32 v69, 0xbf737871, v47
	;; [unrolled: 1-line block ×10, first 2 shown]
	v_sub_f32_e32 v12, v8, v6
	v_sub_f32_e32 v46, v75, v73
	v_add_f32_e32 v12, v12, v46
	v_add_f32_e32 v46, v6, v73
	;; [unrolled: 1-line block ×6, first 2 shown]
	v_sub_f32_e32 v6, v48, v51
	v_sub_f32_e32 v8, v35, v25
	v_add_f32_e32 v6, v6, v8
	v_add_f32_e32 v8, v51, v25
	v_fma_f32 v68, -0.5, v46, v67
	v_fma_f32 v67, -0.5, v8, v31
	v_mov_b32_e32 v73, v67
	v_fmac_f32_e32 v73, 0xbf737871, v49
	v_fmac_f32_e32 v67, 0x3f737871, v49
	;; [unrolled: 1-line block ×6, first 2 shown]
	v_add_f32_e32 v6, v31, v51
	v_add_f32_e32 v6, v6, v48
	;; [unrolled: 1-line block ×4, first 2 shown]
	v_lshlrev_b32_e32 v6, 2, v0
	v_lshlrev_b64 v[46:47], 3, v[6:7]
	v_mov_b32_e32 v74, v68
	v_add_co_u32_e32 v77, vcc, s8, v46
	v_addc_co_u32_e32 v78, vcc, v45, v47, vcc
	global_load_dwordx4 v[45:48], v[77:78], off offset:2512
	global_load_dwordx4 v[49:52], v[77:78], off offset:2496
	v_fmac_f32_e32 v74, 0x3f737871, v19
	v_fmac_f32_e32 v68, 0xbf737871, v19
	s_waitcnt vmcnt(2)
	v_mul_f32_e32 v8, v24, v62
	v_fmac_f32_e32 v74, 0xbf167918, v40
	v_fmac_f32_e32 v68, 0x3f167918, v40
	v_fma_f32 v6, v61, v54, -v8
	v_add_u32_e32 v8, 0x1200, v1
	v_fmac_f32_e32 v74, 0x3e9e377a, v12
	v_fmac_f32_e32 v68, 0x3e9e377a, v12
	v_add_u32_e32 v12, 0x800, v1
	ds_read2_b32 v[79:80], v8 offset0:108 offset1:171
	ds_read2_b32 v[77:78], v12 offset0:118 offset1:181
	ds_read2_b32 v[81:82], v1 offset1:63
	v_mul_f32_e32 v19, v15, v60
	v_mul_f32_e32 v8, v11, v64
	s_waitcnt lgkmcnt(2)
	v_fma_f32 v31, v59, v80, -v19
	v_mul_f32_e32 v19, v18, v58
	s_waitcnt lgkmcnt(1)
	v_fma_f32 v8, v63, v78, -v8
	v_fma_f32 v1, v57, v65, -v19
	v_mul_f32_e32 v40, v54, v62
	v_mul_f32_e32 v55, v80, v60
	v_fmac_f32_e32 v40, v24, v61
	v_fmac_f32_e32 v55, v15, v59
	v_mul_f32_e32 v59, v78, v64
	v_sub_f32_e32 v24, v8, v6
	v_sub_f32_e32 v25, v1, v31
	;; [unrolled: 1-line block ×3, first 2 shown]
	v_fmac_f32_e32 v59, v11, v63
	v_sub_f32_e32 v61, v6, v31
	v_add_f32_e32 v63, v24, v25
	v_add_f32_e32 v24, v6, v31
	s_waitcnt lgkmcnt(0)
	v_add_f32_e32 v6, v6, v82
	v_sub_f32_e32 v19, v31, v1
	v_mul_f32_e32 v58, v65, v58
	v_add_f32_e32 v6, v8, v6
	v_add_f32_e32 v35, v12, v19
	;; [unrolled: 1-line block ×3, first 2 shown]
	v_fmac_f32_e32 v58, v18, v57
	v_sub_f32_e32 v62, v8, v1
	v_fma_f32 v25, -0.5, v24, v82
	v_add_f32_e32 v1, v1, v6
	v_fma_f32 v12, -0.5, v12, v82
	v_sub_f32_e32 v57, v59, v58
	v_mov_b32_e32 v54, v25
	v_add_f32_e32 v6, v31, v1
	v_add_f32_e32 v1, v5, v40
	v_sub_f32_e32 v15, v40, v55
	v_mov_b32_e32 v19, v12
	v_sub_f32_e32 v11, v40, v59
	v_sub_f32_e32 v18, v55, v58
	v_fmac_f32_e32 v54, 0x3f737871, v57
	v_sub_f32_e32 v24, v59, v40
	v_sub_f32_e32 v53, v58, v55
	v_fmac_f32_e32 v25, 0xbf737871, v57
	v_add_f32_e32 v1, v1, v59
	v_fmac_f32_e32 v19, 0xbf737871, v15
	v_add_f32_e32 v60, v11, v18
	v_add_f32_e32 v11, v59, v58
	v_fmac_f32_e32 v54, 0xbf167918, v15
	v_add_f32_e32 v64, v24, v53
	v_add_f32_e32 v24, v40, v55
	v_fmac_f32_e32 v25, 0x3f167918, v15
	v_fmac_f32_e32 v12, 0x3f737871, v15
	v_add_f32_e32 v1, v1, v58
	v_fma_f32 v11, -0.5, v11, v5
	v_fma_f32 v24, -0.5, v24, v5
	v_add_f32_e32 v5, v55, v1
	v_fmac_f32_e32 v19, 0xbf167918, v57
	v_fmac_f32_e32 v12, 0x3f167918, v57
	v_mov_b32_e32 v18, v11
	v_fmac_f32_e32 v18, 0x3f737871, v61
	v_fmac_f32_e32 v11, 0xbf737871, v61
	;; [unrolled: 1-line block ×6, first 2 shown]
	v_add_co_u32_e32 v2, vcc, s12, v2
	s_waitcnt vmcnt(1)
	v_mul_f32_e32 v15, v14, v48
	s_waitcnt vmcnt(0)
	v_mul_f32_e32 v1, v13, v50
	v_mul_f32_e32 v8, v10, v52
	v_fma_f32 v55, v47, v79, -v15
	v_mul_f32_e32 v15, v9, v46
	v_mul_f32_e32 v50, v34, v50
	v_fma_f32 v1, v49, v34, -v1
	v_fma_f32 v40, v51, v77, -v8
	;; [unrolled: 1-line block ×3, first 2 shown]
	v_fmac_f32_e32 v50, v13, v49
	v_mul_f32_e32 v13, v79, v48
	v_mul_f32_e32 v48, v77, v52
	v_sub_f32_e32 v8, v1, v40
	v_sub_f32_e32 v15, v55, v57
	v_fmac_f32_e32 v48, v10, v51
	v_mul_f32_e32 v10, v30, v46
	v_add_f32_e32 v58, v8, v15
	v_add_f32_e32 v8, v40, v57
	v_fmac_f32_e32 v13, v14, v47
	v_fmac_f32_e32 v10, v9, v45
	v_fma_f32 v15, -0.5, v8, v81
	v_sub_f32_e32 v8, v50, v48
	v_sub_f32_e32 v9, v13, v10
	v_add_f32_e32 v45, v8, v9
	v_add_f32_e32 v8, v48, v10
	v_fma_f32 v14, -0.5, v8, v4
	v_sub_f32_e32 v8, v40, v1
	v_sub_f32_e32 v9, v57, v55
	;; [unrolled: 1-line block ×3, first 2 shown]
	v_add_f32_e32 v59, v8, v9
	v_add_f32_e32 v8, v1, v55
	;; [unrolled: 1-line block ×5, first 2 shown]
	v_mov_b32_e32 v30, v14
	v_add_f32_e32 v46, v55, v1
	v_add_f32_e32 v1, v4, v50
	v_fmac_f32_e32 v30, 0x3f737871, v51
	v_sub_f32_e32 v52, v40, v57
	v_fmac_f32_e32 v14, 0xbf737871, v51
	v_add_f32_e32 v1, v1, v48
	v_fmac_f32_e32 v30, 0x3f167918, v52
	v_fma_f32 v9, -0.5, v8, v81
	v_sub_f32_e32 v8, v48, v50
	v_sub_f32_e32 v34, v10, v13
	v_fmac_f32_e32 v14, 0xbf167918, v52
	v_add_f32_e32 v1, v1, v10
	v_fmac_f32_e32 v30, 0x3e9e377a, v45
	v_add_f32_e32 v60, v8, v34
	v_add_f32_e32 v8, v50, v13
	v_fmac_f32_e32 v14, 0x3e9e377a, v45
	v_add_f32_e32 v45, v13, v1
	v_mov_b32_e32 v1, v7
	v_fma_f32 v8, -0.5, v8, v4
	v_mov_b32_e32 v4, s13
	v_lshlrev_b64 v[0:1], 3, v[0:1]
	v_addc_co_u32_e32 v3, vcc, v4, v3, vcc
	v_fmac_f32_e32 v19, 0x3e9e377a, v35
	v_fmac_f32_e32 v12, 0x3e9e377a, v35
	v_sub_f32_e32 v49, v48, v10
	v_mov_b32_e32 v35, v9
	v_mov_b32_e32 v34, v8
	v_add_co_u32_e32 v0, vcc, v2, v0
	v_sub_f32_e32 v47, v50, v13
	v_fmac_f32_e32 v35, 0xbf737871, v49
	v_fmac_f32_e32 v34, 0x3f737871, v52
	;; [unrolled: 1-line block ×3, first 2 shown]
	v_addc_co_u32_e32 v1, vcc, v3, v1, vcc
	v_mov_b32_e32 v31, v15
	v_fmac_f32_e32 v35, 0x3f167918, v47
	v_fmac_f32_e32 v34, 0xbf167918, v51
	;; [unrolled: 1-line block ×5, first 2 shown]
	v_add_co_u32_e32 v2, vcc, s0, v0
	v_fmac_f32_e32 v35, 0x3e9e377a, v59
	v_fmac_f32_e32 v34, 0x3e9e377a, v60
	;; [unrolled: 1-line block ×5, first 2 shown]
	v_addc_co_u32_e32 v3, vcc, 0, v1, vcc
	s_movk_i32 s0, 0x2000
	v_fmac_f32_e32 v15, 0x3e9e377a, v58
	v_fmac_f32_e32 v9, 0x3e9e377a, v59
	global_store_dwordx2 v[0:1], v[45:46], off
	global_store_dwordx2 v[0:1], v[14:15], off offset:2520
	global_store_dwordx2 v[2:3], v[34:35], off offset:944
	;; [unrolled: 1-line block ×3, first 2 shown]
	v_add_co_u32_e32 v8, vcc, s0, v0
	s_mov_b32 s0, 0xa01a01a1
	v_mul_hi_u32 v4, v56, s0
	v_mov_b32_e32 v53, v24
	v_fmac_f32_e32 v31, 0xbf737871, v47
	v_fmac_f32_e32 v53, 0xbf737871, v62
	;; [unrolled: 1-line block ×7, first 2 shown]
	v_addc_co_u32_e32 v9, vcc, 0, v1, vcc
	v_fmac_f32_e32 v54, 0x3e9e377a, v63
	v_fmac_f32_e32 v53, 0x3e9e377a, v64
	;; [unrolled: 1-line block ×4, first 2 shown]
	global_store_dwordx2 v[8:9], v[30:31], off offset:1888
	global_store_dwordx2 v[0:1], v[5:6], off offset:504
	;; [unrolled: 1-line block ×16, first 2 shown]
	v_sub_u32_e32 v2, v56, v4
	v_lshrrev_b32_e32 v2, 1, v2
	v_add_u32_e32 v2, v2, v4
	v_lshrrev_b32_e32 v2, 8, v2
	v_mul_u32_u24_e32 v6, 0x4ec, v2
	v_lshlrev_b64 v[2:3], 3, v[6:7]
	v_add_co_u32_e32 v0, vcc, v0, v2
	v_addc_co_u32_e32 v1, vcc, v1, v3, vcc
	v_add_co_u32_e32 v2, vcc, 0x7e0, v0
	v_addc_co_u32_e32 v3, vcc, 0, v1, vcc
	global_store_dwordx2 v[0:1], v[28:29], off offset:2016
	global_store_dwordx2 v[2:3], v[26:27], off offset:2520
	v_add_co_u32_e32 v2, vcc, 0x1000, v0
	v_addc_co_u32_e32 v3, vcc, 0, v1, vcc
	v_add_co_u32_e32 v0, vcc, 0x2000, v0
	v_addc_co_u32_e32 v1, vcc, 0, v1, vcc
	global_store_dwordx2 v[2:3], v[22:23], off offset:2960
	global_store_dwordx2 v[0:1], v[20:21], off offset:1384
	;; [unrolled: 1-line block ×3, first 2 shown]
.LBB0_35:
	s_endpgm
	.section	.rodata,"a",@progbits
	.p2align	6, 0x0
	.amdhsa_kernel fft_rtc_back_len1575_factors_3_3_5_7_5_wgs_63_tpt_63_halfLds_sp_ip_CI_unitstride_sbrr_dirReg
		.amdhsa_group_segment_fixed_size 0
		.amdhsa_private_segment_fixed_size 0
		.amdhsa_kernarg_size 88
		.amdhsa_user_sgpr_count 6
		.amdhsa_user_sgpr_private_segment_buffer 1
		.amdhsa_user_sgpr_dispatch_ptr 0
		.amdhsa_user_sgpr_queue_ptr 0
		.amdhsa_user_sgpr_kernarg_segment_ptr 1
		.amdhsa_user_sgpr_dispatch_id 0
		.amdhsa_user_sgpr_flat_scratch_init 0
		.amdhsa_user_sgpr_private_segment_size 0
		.amdhsa_uses_dynamic_stack 0
		.amdhsa_system_sgpr_private_segment_wavefront_offset 0
		.amdhsa_system_sgpr_workgroup_id_x 1
		.amdhsa_system_sgpr_workgroup_id_y 0
		.amdhsa_system_sgpr_workgroup_id_z 0
		.amdhsa_system_sgpr_workgroup_info 0
		.amdhsa_system_vgpr_workitem_id 0
		.amdhsa_next_free_vgpr 135
		.amdhsa_next_free_sgpr 22
		.amdhsa_reserve_vcc 1
		.amdhsa_reserve_flat_scratch 0
		.amdhsa_float_round_mode_32 0
		.amdhsa_float_round_mode_16_64 0
		.amdhsa_float_denorm_mode_32 3
		.amdhsa_float_denorm_mode_16_64 3
		.amdhsa_dx10_clamp 1
		.amdhsa_ieee_mode 1
		.amdhsa_fp16_overflow 0
		.amdhsa_exception_fp_ieee_invalid_op 0
		.amdhsa_exception_fp_denorm_src 0
		.amdhsa_exception_fp_ieee_div_zero 0
		.amdhsa_exception_fp_ieee_overflow 0
		.amdhsa_exception_fp_ieee_underflow 0
		.amdhsa_exception_fp_ieee_inexact 0
		.amdhsa_exception_int_div_zero 0
	.end_amdhsa_kernel
	.text
.Lfunc_end0:
	.size	fft_rtc_back_len1575_factors_3_3_5_7_5_wgs_63_tpt_63_halfLds_sp_ip_CI_unitstride_sbrr_dirReg, .Lfunc_end0-fft_rtc_back_len1575_factors_3_3_5_7_5_wgs_63_tpt_63_halfLds_sp_ip_CI_unitstride_sbrr_dirReg
                                        ; -- End function
	.section	.AMDGPU.csdata,"",@progbits
; Kernel info:
; codeLenInByte = 14764
; NumSgprs: 26
; NumVgprs: 135
; ScratchSize: 0
; MemoryBound: 0
; FloatMode: 240
; IeeeMode: 1
; LDSByteSize: 0 bytes/workgroup (compile time only)
; SGPRBlocks: 3
; VGPRBlocks: 33
; NumSGPRsForWavesPerEU: 26
; NumVGPRsForWavesPerEU: 135
; Occupancy: 1
; WaveLimiterHint : 1
; COMPUTE_PGM_RSRC2:SCRATCH_EN: 0
; COMPUTE_PGM_RSRC2:USER_SGPR: 6
; COMPUTE_PGM_RSRC2:TRAP_HANDLER: 0
; COMPUTE_PGM_RSRC2:TGID_X_EN: 1
; COMPUTE_PGM_RSRC2:TGID_Y_EN: 0
; COMPUTE_PGM_RSRC2:TGID_Z_EN: 0
; COMPUTE_PGM_RSRC2:TIDIG_COMP_CNT: 0
	.type	__hip_cuid_afc477ae7f638d0,@object ; @__hip_cuid_afc477ae7f638d0
	.section	.bss,"aw",@nobits
	.globl	__hip_cuid_afc477ae7f638d0
__hip_cuid_afc477ae7f638d0:
	.byte	0                               ; 0x0
	.size	__hip_cuid_afc477ae7f638d0, 1

	.ident	"AMD clang version 19.0.0git (https://github.com/RadeonOpenCompute/llvm-project roc-6.4.0 25133 c7fe45cf4b819c5991fe208aaa96edf142730f1d)"
	.section	".note.GNU-stack","",@progbits
	.addrsig
	.addrsig_sym __hip_cuid_afc477ae7f638d0
	.amdgpu_metadata
---
amdhsa.kernels:
  - .args:
      - .actual_access:  read_only
        .address_space:  global
        .offset:         0
        .size:           8
        .value_kind:     global_buffer
      - .offset:         8
        .size:           8
        .value_kind:     by_value
      - .actual_access:  read_only
        .address_space:  global
        .offset:         16
        .size:           8
        .value_kind:     global_buffer
      - .actual_access:  read_only
        .address_space:  global
        .offset:         24
        .size:           8
        .value_kind:     global_buffer
      - .offset:         32
        .size:           8
        .value_kind:     by_value
      - .actual_access:  read_only
        .address_space:  global
        .offset:         40
        .size:           8
        .value_kind:     global_buffer
      - .actual_access:  read_only
        .address_space:  global
        .offset:         48
        .size:           8
        .value_kind:     global_buffer
      - .offset:         56
        .size:           4
        .value_kind:     by_value
      - .actual_access:  read_only
        .address_space:  global
        .offset:         64
        .size:           8
        .value_kind:     global_buffer
      - .actual_access:  read_only
        .address_space:  global
        .offset:         72
        .size:           8
        .value_kind:     global_buffer
      - .address_space:  global
        .offset:         80
        .size:           8
        .value_kind:     global_buffer
    .group_segment_fixed_size: 0
    .kernarg_segment_align: 8
    .kernarg_segment_size: 88
    .language:       OpenCL C
    .language_version:
      - 2
      - 0
    .max_flat_workgroup_size: 63
    .name:           fft_rtc_back_len1575_factors_3_3_5_7_5_wgs_63_tpt_63_halfLds_sp_ip_CI_unitstride_sbrr_dirReg
    .private_segment_fixed_size: 0
    .sgpr_count:     26
    .sgpr_spill_count: 0
    .symbol:         fft_rtc_back_len1575_factors_3_3_5_7_5_wgs_63_tpt_63_halfLds_sp_ip_CI_unitstride_sbrr_dirReg.kd
    .uniform_work_group_size: 1
    .uses_dynamic_stack: false
    .vgpr_count:     135
    .vgpr_spill_count: 0
    .wavefront_size: 64
amdhsa.target:   amdgcn-amd-amdhsa--gfx906
amdhsa.version:
  - 1
  - 2
...

	.end_amdgpu_metadata
